;; amdgpu-corpus repo=pytorch/pytorch kind=compiled arch=gfx906 opt=O3
	.amdgcn_target "amdgcn-amd-amdhsa--gfx906"
	.amdhsa_code_object_version 6
	.section	.text._ZN2at6native12_GLOBAL__N_130MultiMarginLoss_forward_kernelILi1EdEEvPT0_PKS3_PKlS6_iibS3_,"axG",@progbits,_ZN2at6native12_GLOBAL__N_130MultiMarginLoss_forward_kernelILi1EdEEvPT0_PKS3_PKlS6_iibS3_,comdat
	.globl	_ZN2at6native12_GLOBAL__N_130MultiMarginLoss_forward_kernelILi1EdEEvPT0_PKS3_PKlS6_iibS3_ ; -- Begin function _ZN2at6native12_GLOBAL__N_130MultiMarginLoss_forward_kernelILi1EdEEvPT0_PKS3_PKlS6_iibS3_
	.p2align	8
	.type	_ZN2at6native12_GLOBAL__N_130MultiMarginLoss_forward_kernelILi1EdEEvPT0_PKS3_PKlS6_iibS3_,@function
_ZN2at6native12_GLOBAL__N_130MultiMarginLoss_forward_kernelILi1EdEEvPT0_PKS3_PKlS6_iibS3_: ; @_ZN2at6native12_GLOBAL__N_130MultiMarginLoss_forward_kernelILi1EdEEvPT0_PKS3_PKlS6_iibS3_
; %bb.0:
	s_load_dwordx8 s[8:15], s[4:5], 0x0
	s_ashr_i32 s7, s6, 31
	s_lshl_b64 s[20:21], s[6:7], 3
	s_waitcnt lgkmcnt(0)
	s_add_u32 s0, s12, s20
	s_addc_u32 s1, s13, s21
	s_load_dwordx2 s[22:23], s[0:1], 0x0
	s_waitcnt lgkmcnt(0)
	s_cmp_lt_i32 s22, 0
	s_cbranch_scc1 .LBB0_23
; %bb.1:
	s_load_dwordx4 s[16:19], s[4:5], 0x20
	s_waitcnt lgkmcnt(0)
	s_cmp_le_i32 s17, s22
	s_cselect_b64 s[0:1], -1, 0
	s_getpc_b64 s[2:3]
	s_add_u32 s2, s2, .str@rel32@lo+4
	s_addc_u32 s3, s3, .str@rel32@hi+12
	s_cmp_eq_u64 s[2:3], 0
	s_cselect_b64 s[2:3], -1, 0
	s_or_b64 s[12:13], s[0:1], s[2:3]
	s_andn2_b64 vcc, exec, s[12:13]
	s_cbranch_vccz .LBB0_21
; %bb.2:
	s_load_dword s0, s[4:5], 0x44
	v_mov_b32_e32 v1, 0
	v_lshlrev_b32_e32 v9, 3, v0
	v_mov_b32_e32 v2, v1
	v_cmp_gt_u32_e32 vcc, s17, v0
	s_waitcnt lgkmcnt(0)
	s_and_b32 s19, s0, 0xffff
	ds_write_b64 v9, v[1:2]
	s_and_saveexec_b64 s[24:25], vcc
	s_cbranch_execz .LBB0_9
; %bb.3:
	s_mul_i32 s0, s17, s6
	s_ashr_i32 s1, s0, 31
	s_lshl_b64 s[0:1], s[0:1], 3
	s_add_u32 s26, s10, s0
	s_addc_u32 s27, s11, s1
	s_lshl_b64 s[0:1], s[22:23], 3
	s_and_b32 s1, s1, 3
	s_add_u32 s2, s26, s0
	s_addc_u32 s3, s27, s1
	s_load_dwordx2 s[6:7], s[2:3], 0x0
	s_load_dwordx2 s[10:11], s[4:5], 0x30
	s_cmp_lg_u64 s[14:15], 0
	s_cselect_b64 s[2:3], -1, 0
	v_mov_b32_e32 v4, s27
	s_waitcnt lgkmcnt(0)
	v_mov_b32_e32 v1, s6
	v_mov_b32_e32 v2, s7
	v_add_f64 v[1:2], s[10:11], -v[1:2]
	s_add_u32 s6, s14, s0
	v_add_co_u32_e32 v3, vcc, s26, v9
	v_mov_b32_e32 v5, 0
	v_cndmask_b32_e64 v7, 0, 1, s[2:3]
	s_mov_b64 s[4:5], 0
	s_addc_u32 s7, s15, s1
	v_addc_co_u32_e32 v4, vcc, 0, v4, vcc
	s_lshl_b32 s10, s19, 3
	v_mov_b32_e32 v6, 0
	v_cmp_ne_u32_e64 s[0:1], 1, v7
	v_mov_b32_e32 v10, v0
	s_branch .LBB0_6
.LBB0_4:                                ;   in Loop: Header=BB0_6 Depth=1
	v_add_f64 v[5:6], v[7:8], v[5:6]
	ds_write_b64 v9, v[5:6]
.LBB0_5:                                ;   in Loop: Header=BB0_6 Depth=1
	s_or_b64 exec, exec, s[2:3]
	v_add_u32_e32 v10, s19, v10
	v_cmp_le_i32_e32 vcc, s17, v10
	s_or_b64 s[4:5], vcc, s[4:5]
	v_add_co_u32_e32 v3, vcc, s10, v3
	v_addc_co_u32_e32 v4, vcc, 0, v4, vcc
	s_andn2_b64 exec, exec, s[4:5]
	s_cbranch_execz .LBB0_9
.LBB0_6:                                ; =>This Inner Loop Header: Depth=1
	global_load_dwordx2 v[7:8], v[3:4], off
	v_cmp_ne_u32_e64 s[2:3], s22, v10
	s_waitcnt vmcnt(0)
	v_add_f64 v[7:8], v[1:2], v[7:8]
	v_cmp_lt_f64_e32 vcc, 0, v[7:8]
	s_and_b64 s[14:15], s[2:3], vcc
	s_and_saveexec_b64 s[2:3], s[14:15]
	s_cbranch_execz .LBB0_5
; %bb.7:                                ;   in Loop: Header=BB0_6 Depth=1
	s_and_b64 vcc, exec, s[0:1]
	s_cbranch_vccnz .LBB0_4
; %bb.8:                                ;   in Loop: Header=BB0_6 Depth=1
	s_load_dwordx2 s[14:15], s[6:7], 0x0
	s_waitcnt lgkmcnt(0)
	v_mul_f64 v[7:8], v[7:8], s[14:15]
	s_branch .LBB0_4
.LBB0_9:
	s_or_b64 exec, exec, s[24:25]
	v_cmp_eq_u32_e32 vcc, 0, v0
	s_waitcnt lgkmcnt(0)
	s_barrier
	s_and_saveexec_b64 s[0:1], vcc
	s_cbranch_execz .LBB0_20
; %bb.10:
	s_cmp_eq_u32 s19, 0
	s_cbranch_scc1 .LBB0_15
; %bb.11:
	s_cmp_lt_u32 s19, 8
	s_cbranch_scc1 .LBB0_16
; %bb.12:
	v_mov_b32_e32 v0, 0
	s_and_b32 s2, s19, 0xfff8
	s_mov_b32 s3, 0
	v_mov_b32_e32 v1, 0
	s_mov_b32 s4, 0
.LBB0_13:                               ; =>This Inner Loop Header: Depth=1
	v_mov_b32_e32 v10, s3
	ds_read_b128 v[2:5], v10
	ds_read_b128 v[6:9], v10 offset:16
	s_add_i32 s4, s4, 8
	s_add_i32 s3, s3, 64
	s_cmp_eq_u32 s2, s4
	s_waitcnt lgkmcnt(1)
	v_add_f64 v[0:1], v[0:1], v[2:3]
	v_add_f64 v[0:1], v[0:1], v[4:5]
	s_waitcnt lgkmcnt(0)
	v_add_f64 v[0:1], v[0:1], v[6:7]
	v_add_f64 v[8:9], v[0:1], v[8:9]
	ds_read_b128 v[0:3], v10 offset:32
	ds_read_b128 v[4:7], v10 offset:48
	s_waitcnt lgkmcnt(1)
	v_add_f64 v[0:1], v[8:9], v[0:1]
	v_add_f64 v[0:1], v[0:1], v[2:3]
	s_waitcnt lgkmcnt(0)
	v_add_f64 v[0:1], v[0:1], v[4:5]
	v_add_f64 v[0:1], v[0:1], v[6:7]
	s_cbranch_scc0 .LBB0_13
; %bb.14:
	s_and_b32 s3, s19, 7
	s_cmp_eq_u32 s3, 0
	s_cbranch_scc0 .LBB0_17
	s_branch .LBB0_19
.LBB0_15:
	v_mov_b32_e32 v0, 0
	v_mov_b32_e32 v1, 0
	s_branch .LBB0_19
.LBB0_16:
	v_mov_b32_e32 v0, 0
	v_mov_b32_e32 v1, 0
	s_mov_b32 s2, 0
	s_and_b32 s3, s19, 7
	s_cmp_eq_u32 s3, 0
	s_cbranch_scc1 .LBB0_19
.LBB0_17:
	s_lshl_b32 s2, s2, 3
.LBB0_18:                               ; =>This Inner Loop Header: Depth=1
	v_mov_b32_e32 v2, s2
	ds_read_b64 v[2:3], v2
	s_add_i32 s2, s2, 8
	s_add_i32 s3, s3, -1
	s_cmp_lg_u32 s3, 0
	s_waitcnt lgkmcnt(0)
	v_add_f64 v[0:1], v[0:1], v[2:3]
	s_cbranch_scc1 .LBB0_18
.LBB0_19:
	s_and_b32 s4, 1, s18
	s_add_u32 s2, s8, s20
	s_addc_u32 s3, s9, s21
	s_cmp_eq_u32 s4, 1
	s_cselect_b32 s4, s16, 1
	s_mul_i32 s4, s4, s17
	v_cvt_f64_i32_e32 v[2:3], s4
	v_div_scale_f64 v[4:5], s[4:5], v[2:3], v[2:3], v[0:1]
	v_div_scale_f64 v[10:11], vcc, v[0:1], v[2:3], v[0:1]
	v_rcp_f64_e32 v[6:7], v[4:5]
	v_fma_f64 v[8:9], -v[4:5], v[6:7], 1.0
	v_fma_f64 v[6:7], v[6:7], v[8:9], v[6:7]
	v_fma_f64 v[8:9], -v[4:5], v[6:7], 1.0
	v_fma_f64 v[6:7], v[6:7], v[8:9], v[6:7]
	v_mul_f64 v[8:9], v[10:11], v[6:7]
	v_fma_f64 v[4:5], -v[4:5], v[8:9], v[10:11]
	v_div_fmas_f64 v[4:5], v[4:5], v[6:7], v[8:9]
	v_div_fixup_f64 v[0:1], v[4:5], v[2:3], v[0:1]
	v_mov_b32_e32 v2, 0
	global_store_dwordx2 v2, v[0:1], s[2:3]
.LBB0_20:
	s_or_b64 exec, exec, s[0:1]
.LBB0_21:
	s_and_b64 vcc, exec, s[12:13]
	s_cbranch_vccnz .LBB0_24
.LBB0_22:
	s_endpgm
.LBB0_23:
	s_cbranch_execz .LBB0_22
.LBB0_24:
	s_trap 2
	; divergent unreachable
	s_endpgm
	.section	.rodata,"a",@progbits
	.p2align	6, 0x0
	.amdhsa_kernel _ZN2at6native12_GLOBAL__N_130MultiMarginLoss_forward_kernelILi1EdEEvPT0_PKS3_PKlS6_iibS3_
		.amdhsa_group_segment_fixed_size 1024
		.amdhsa_private_segment_fixed_size 0
		.amdhsa_kernarg_size 312
		.amdhsa_user_sgpr_count 6
		.amdhsa_user_sgpr_private_segment_buffer 1
		.amdhsa_user_sgpr_dispatch_ptr 0
		.amdhsa_user_sgpr_queue_ptr 0
		.amdhsa_user_sgpr_kernarg_segment_ptr 1
		.amdhsa_user_sgpr_dispatch_id 0
		.amdhsa_user_sgpr_flat_scratch_init 0
		.amdhsa_user_sgpr_private_segment_size 0
		.amdhsa_uses_dynamic_stack 0
		.amdhsa_system_sgpr_private_segment_wavefront_offset 0
		.amdhsa_system_sgpr_workgroup_id_x 1
		.amdhsa_system_sgpr_workgroup_id_y 0
		.amdhsa_system_sgpr_workgroup_id_z 0
		.amdhsa_system_sgpr_workgroup_info 0
		.amdhsa_system_vgpr_workitem_id 0
		.amdhsa_next_free_vgpr 12
		.amdhsa_next_free_sgpr 28
		.amdhsa_reserve_vcc 1
		.amdhsa_reserve_flat_scratch 0
		.amdhsa_float_round_mode_32 0
		.amdhsa_float_round_mode_16_64 0
		.amdhsa_float_denorm_mode_32 3
		.amdhsa_float_denorm_mode_16_64 3
		.amdhsa_dx10_clamp 1
		.amdhsa_ieee_mode 1
		.amdhsa_fp16_overflow 0
		.amdhsa_exception_fp_ieee_invalid_op 0
		.amdhsa_exception_fp_denorm_src 0
		.amdhsa_exception_fp_ieee_div_zero 0
		.amdhsa_exception_fp_ieee_overflow 0
		.amdhsa_exception_fp_ieee_underflow 0
		.amdhsa_exception_fp_ieee_inexact 0
		.amdhsa_exception_int_div_zero 0
	.end_amdhsa_kernel
	.section	.text._ZN2at6native12_GLOBAL__N_130MultiMarginLoss_forward_kernelILi1EdEEvPT0_PKS3_PKlS6_iibS3_,"axG",@progbits,_ZN2at6native12_GLOBAL__N_130MultiMarginLoss_forward_kernelILi1EdEEvPT0_PKS3_PKlS6_iibS3_,comdat
.Lfunc_end0:
	.size	_ZN2at6native12_GLOBAL__N_130MultiMarginLoss_forward_kernelILi1EdEEvPT0_PKS3_PKlS6_iibS3_, .Lfunc_end0-_ZN2at6native12_GLOBAL__N_130MultiMarginLoss_forward_kernelILi1EdEEvPT0_PKS3_PKlS6_iibS3_
                                        ; -- End function
	.set _ZN2at6native12_GLOBAL__N_130MultiMarginLoss_forward_kernelILi1EdEEvPT0_PKS3_PKlS6_iibS3_.num_vgpr, 12
	.set _ZN2at6native12_GLOBAL__N_130MultiMarginLoss_forward_kernelILi1EdEEvPT0_PKS3_PKlS6_iibS3_.num_agpr, 0
	.set _ZN2at6native12_GLOBAL__N_130MultiMarginLoss_forward_kernelILi1EdEEvPT0_PKS3_PKlS6_iibS3_.numbered_sgpr, 28
	.set _ZN2at6native12_GLOBAL__N_130MultiMarginLoss_forward_kernelILi1EdEEvPT0_PKS3_PKlS6_iibS3_.num_named_barrier, 0
	.set _ZN2at6native12_GLOBAL__N_130MultiMarginLoss_forward_kernelILi1EdEEvPT0_PKS3_PKlS6_iibS3_.private_seg_size, 0
	.set _ZN2at6native12_GLOBAL__N_130MultiMarginLoss_forward_kernelILi1EdEEvPT0_PKS3_PKlS6_iibS3_.uses_vcc, 1
	.set _ZN2at6native12_GLOBAL__N_130MultiMarginLoss_forward_kernelILi1EdEEvPT0_PKS3_PKlS6_iibS3_.uses_flat_scratch, 0
	.set _ZN2at6native12_GLOBAL__N_130MultiMarginLoss_forward_kernelILi1EdEEvPT0_PKS3_PKlS6_iibS3_.has_dyn_sized_stack, 0
	.set _ZN2at6native12_GLOBAL__N_130MultiMarginLoss_forward_kernelILi1EdEEvPT0_PKS3_PKlS6_iibS3_.has_recursion, 0
	.set _ZN2at6native12_GLOBAL__N_130MultiMarginLoss_forward_kernelILi1EdEEvPT0_PKS3_PKlS6_iibS3_.has_indirect_call, 0
	.section	.AMDGPU.csdata,"",@progbits
; Kernel info:
; codeLenInByte = 868
; TotalNumSgprs: 32
; NumVgprs: 12
; ScratchSize: 0
; MemoryBound: 1
; FloatMode: 240
; IeeeMode: 1
; LDSByteSize: 1024 bytes/workgroup (compile time only)
; SGPRBlocks: 3
; VGPRBlocks: 2
; NumSGPRsForWavesPerEU: 32
; NumVGPRsForWavesPerEU: 12
; Occupancy: 10
; WaveLimiterHint : 1
; COMPUTE_PGM_RSRC2:SCRATCH_EN: 0
; COMPUTE_PGM_RSRC2:USER_SGPR: 6
; COMPUTE_PGM_RSRC2:TRAP_HANDLER: 0
; COMPUTE_PGM_RSRC2:TGID_X_EN: 1
; COMPUTE_PGM_RSRC2:TGID_Y_EN: 0
; COMPUTE_PGM_RSRC2:TGID_Z_EN: 0
; COMPUTE_PGM_RSRC2:TIDIG_COMP_CNT: 0
	.section	.text._ZN2at6native12_GLOBAL__N_130MultiMarginLoss_forward_kernelILi2EdEEvPT0_PKS3_PKlS6_iibS3_,"axG",@progbits,_ZN2at6native12_GLOBAL__N_130MultiMarginLoss_forward_kernelILi2EdEEvPT0_PKS3_PKlS6_iibS3_,comdat
	.globl	_ZN2at6native12_GLOBAL__N_130MultiMarginLoss_forward_kernelILi2EdEEvPT0_PKS3_PKlS6_iibS3_ ; -- Begin function _ZN2at6native12_GLOBAL__N_130MultiMarginLoss_forward_kernelILi2EdEEvPT0_PKS3_PKlS6_iibS3_
	.p2align	8
	.type	_ZN2at6native12_GLOBAL__N_130MultiMarginLoss_forward_kernelILi2EdEEvPT0_PKS3_PKlS6_iibS3_,@function
_ZN2at6native12_GLOBAL__N_130MultiMarginLoss_forward_kernelILi2EdEEvPT0_PKS3_PKlS6_iibS3_: ; @_ZN2at6native12_GLOBAL__N_130MultiMarginLoss_forward_kernelILi2EdEEvPT0_PKS3_PKlS6_iibS3_
; %bb.0:
	s_load_dwordx8 s[8:15], s[4:5], 0x0
	s_ashr_i32 s7, s6, 31
	s_lshl_b64 s[20:21], s[6:7], 3
	s_waitcnt lgkmcnt(0)
	s_add_u32 s0, s12, s20
	s_addc_u32 s1, s13, s21
	s_load_dwordx2 s[22:23], s[0:1], 0x0
	s_waitcnt lgkmcnt(0)
	s_cmp_lt_i32 s22, 0
	s_cbranch_scc1 .LBB1_23
; %bb.1:
	s_load_dwordx4 s[16:19], s[4:5], 0x20
	s_waitcnt lgkmcnt(0)
	s_cmp_le_i32 s17, s22
	s_cselect_b64 s[0:1], -1, 0
	s_getpc_b64 s[2:3]
	s_add_u32 s2, s2, .str@rel32@lo+4
	s_addc_u32 s3, s3, .str@rel32@hi+12
	s_cmp_eq_u64 s[2:3], 0
	s_cselect_b64 s[2:3], -1, 0
	s_or_b64 s[12:13], s[0:1], s[2:3]
	s_andn2_b64 vcc, exec, s[12:13]
	s_cbranch_vccz .LBB1_21
; %bb.2:
	s_load_dword s0, s[4:5], 0x44
	v_mov_b32_e32 v1, 0
	v_lshlrev_b32_e32 v9, 3, v0
	v_mov_b32_e32 v2, v1
	v_cmp_gt_u32_e32 vcc, s17, v0
	s_waitcnt lgkmcnt(0)
	s_and_b32 s19, s0, 0xffff
	ds_write_b64 v9, v[1:2]
	s_and_saveexec_b64 s[24:25], vcc
	s_cbranch_execz .LBB1_9
; %bb.3:
	s_mul_i32 s0, s17, s6
	s_ashr_i32 s1, s0, 31
	s_lshl_b64 s[0:1], s[0:1], 3
	s_add_u32 s26, s10, s0
	s_addc_u32 s27, s11, s1
	s_lshl_b64 s[0:1], s[22:23], 3
	s_and_b32 s1, s1, 3
	s_add_u32 s2, s26, s0
	s_addc_u32 s3, s27, s1
	s_load_dwordx2 s[6:7], s[2:3], 0x0
	s_load_dwordx2 s[10:11], s[4:5], 0x30
	s_cmp_lg_u64 s[14:15], 0
	s_cselect_b64 s[2:3], -1, 0
	v_mov_b32_e32 v4, s27
	s_waitcnt lgkmcnt(0)
	v_mov_b32_e32 v1, s6
	v_mov_b32_e32 v2, s7
	v_add_f64 v[1:2], s[10:11], -v[1:2]
	s_add_u32 s6, s14, s0
	v_add_co_u32_e32 v3, vcc, s26, v9
	v_mov_b32_e32 v5, 0
	v_cndmask_b32_e64 v7, 0, 1, s[2:3]
	s_mov_b64 s[4:5], 0
	s_addc_u32 s7, s15, s1
	v_addc_co_u32_e32 v4, vcc, 0, v4, vcc
	s_lshl_b32 s10, s19, 3
	v_mov_b32_e32 v6, 0
	v_cmp_ne_u32_e64 s[0:1], 1, v7
	v_mov_b32_e32 v10, v0
	s_branch .LBB1_6
.LBB1_4:                                ;   in Loop: Header=BB1_6 Depth=1
	v_add_f64 v[5:6], v[7:8], v[5:6]
	ds_write_b64 v9, v[5:6]
.LBB1_5:                                ;   in Loop: Header=BB1_6 Depth=1
	s_or_b64 exec, exec, s[2:3]
	v_add_u32_e32 v10, s19, v10
	v_cmp_le_i32_e32 vcc, s17, v10
	s_or_b64 s[4:5], vcc, s[4:5]
	v_add_co_u32_e32 v3, vcc, s10, v3
	v_addc_co_u32_e32 v4, vcc, 0, v4, vcc
	s_andn2_b64 exec, exec, s[4:5]
	s_cbranch_execz .LBB1_9
.LBB1_6:                                ; =>This Inner Loop Header: Depth=1
	global_load_dwordx2 v[7:8], v[3:4], off
	v_cmp_ne_u32_e64 s[2:3], s22, v10
	s_waitcnt vmcnt(0)
	v_add_f64 v[7:8], v[1:2], v[7:8]
	v_cmp_lt_f64_e32 vcc, 0, v[7:8]
	s_and_b64 s[14:15], s[2:3], vcc
	s_and_saveexec_b64 s[2:3], s[14:15]
	s_cbranch_execz .LBB1_5
; %bb.7:                                ;   in Loop: Header=BB1_6 Depth=1
	v_mul_f64 v[7:8], v[7:8], v[7:8]
	s_and_b64 vcc, exec, s[0:1]
	s_cbranch_vccnz .LBB1_4
; %bb.8:                                ;   in Loop: Header=BB1_6 Depth=1
	s_load_dwordx2 s[14:15], s[6:7], 0x0
	s_waitcnt lgkmcnt(0)
	v_mul_f64 v[7:8], v[7:8], s[14:15]
	s_branch .LBB1_4
.LBB1_9:
	s_or_b64 exec, exec, s[24:25]
	v_cmp_eq_u32_e32 vcc, 0, v0
	s_waitcnt lgkmcnt(0)
	s_barrier
	s_and_saveexec_b64 s[0:1], vcc
	s_cbranch_execz .LBB1_20
; %bb.10:
	s_cmp_eq_u32 s19, 0
	s_cbranch_scc1 .LBB1_15
; %bb.11:
	s_cmp_lt_u32 s19, 8
	s_cbranch_scc1 .LBB1_16
; %bb.12:
	v_mov_b32_e32 v0, 0
	s_and_b32 s2, s19, 0xfff8
	s_mov_b32 s3, 0
	v_mov_b32_e32 v1, 0
	s_mov_b32 s4, 0
.LBB1_13:                               ; =>This Inner Loop Header: Depth=1
	v_mov_b32_e32 v10, s3
	ds_read_b128 v[2:5], v10
	ds_read_b128 v[6:9], v10 offset:16
	s_add_i32 s4, s4, 8
	s_add_i32 s3, s3, 64
	s_cmp_eq_u32 s2, s4
	s_waitcnt lgkmcnt(1)
	v_add_f64 v[0:1], v[0:1], v[2:3]
	v_add_f64 v[0:1], v[0:1], v[4:5]
	s_waitcnt lgkmcnt(0)
	v_add_f64 v[0:1], v[0:1], v[6:7]
	v_add_f64 v[8:9], v[0:1], v[8:9]
	ds_read_b128 v[0:3], v10 offset:32
	ds_read_b128 v[4:7], v10 offset:48
	s_waitcnt lgkmcnt(1)
	v_add_f64 v[0:1], v[8:9], v[0:1]
	v_add_f64 v[0:1], v[0:1], v[2:3]
	s_waitcnt lgkmcnt(0)
	v_add_f64 v[0:1], v[0:1], v[4:5]
	v_add_f64 v[0:1], v[0:1], v[6:7]
	s_cbranch_scc0 .LBB1_13
; %bb.14:
	s_and_b32 s3, s19, 7
	s_cmp_eq_u32 s3, 0
	s_cbranch_scc0 .LBB1_17
	s_branch .LBB1_19
.LBB1_15:
	v_mov_b32_e32 v0, 0
	v_mov_b32_e32 v1, 0
	s_branch .LBB1_19
.LBB1_16:
	v_mov_b32_e32 v0, 0
	v_mov_b32_e32 v1, 0
	s_mov_b32 s2, 0
	s_and_b32 s3, s19, 7
	s_cmp_eq_u32 s3, 0
	s_cbranch_scc1 .LBB1_19
.LBB1_17:
	s_lshl_b32 s2, s2, 3
.LBB1_18:                               ; =>This Inner Loop Header: Depth=1
	v_mov_b32_e32 v2, s2
	ds_read_b64 v[2:3], v2
	s_add_i32 s2, s2, 8
	s_add_i32 s3, s3, -1
	s_cmp_lg_u32 s3, 0
	s_waitcnt lgkmcnt(0)
	v_add_f64 v[0:1], v[0:1], v[2:3]
	s_cbranch_scc1 .LBB1_18
.LBB1_19:
	s_and_b32 s4, 1, s18
	s_add_u32 s2, s8, s20
	s_addc_u32 s3, s9, s21
	s_cmp_eq_u32 s4, 1
	s_cselect_b32 s4, s16, 1
	s_mul_i32 s4, s4, s17
	v_cvt_f64_i32_e32 v[2:3], s4
	v_div_scale_f64 v[4:5], s[4:5], v[2:3], v[2:3], v[0:1]
	v_div_scale_f64 v[10:11], vcc, v[0:1], v[2:3], v[0:1]
	v_rcp_f64_e32 v[6:7], v[4:5]
	v_fma_f64 v[8:9], -v[4:5], v[6:7], 1.0
	v_fma_f64 v[6:7], v[6:7], v[8:9], v[6:7]
	v_fma_f64 v[8:9], -v[4:5], v[6:7], 1.0
	v_fma_f64 v[6:7], v[6:7], v[8:9], v[6:7]
	v_mul_f64 v[8:9], v[10:11], v[6:7]
	v_fma_f64 v[4:5], -v[4:5], v[8:9], v[10:11]
	v_div_fmas_f64 v[4:5], v[4:5], v[6:7], v[8:9]
	v_div_fixup_f64 v[0:1], v[4:5], v[2:3], v[0:1]
	v_mov_b32_e32 v2, 0
	global_store_dwordx2 v2, v[0:1], s[2:3]
.LBB1_20:
	s_or_b64 exec, exec, s[0:1]
.LBB1_21:
	s_and_b64 vcc, exec, s[12:13]
	s_cbranch_vccnz .LBB1_24
.LBB1_22:
	s_endpgm
.LBB1_23:
	s_cbranch_execz .LBB1_22
.LBB1_24:
	s_trap 2
	; divergent unreachable
	s_endpgm
	.section	.rodata,"a",@progbits
	.p2align	6, 0x0
	.amdhsa_kernel _ZN2at6native12_GLOBAL__N_130MultiMarginLoss_forward_kernelILi2EdEEvPT0_PKS3_PKlS6_iibS3_
		.amdhsa_group_segment_fixed_size 1024
		.amdhsa_private_segment_fixed_size 0
		.amdhsa_kernarg_size 312
		.amdhsa_user_sgpr_count 6
		.amdhsa_user_sgpr_private_segment_buffer 1
		.amdhsa_user_sgpr_dispatch_ptr 0
		.amdhsa_user_sgpr_queue_ptr 0
		.amdhsa_user_sgpr_kernarg_segment_ptr 1
		.amdhsa_user_sgpr_dispatch_id 0
		.amdhsa_user_sgpr_flat_scratch_init 0
		.amdhsa_user_sgpr_private_segment_size 0
		.amdhsa_uses_dynamic_stack 0
		.amdhsa_system_sgpr_private_segment_wavefront_offset 0
		.amdhsa_system_sgpr_workgroup_id_x 1
		.amdhsa_system_sgpr_workgroup_id_y 0
		.amdhsa_system_sgpr_workgroup_id_z 0
		.amdhsa_system_sgpr_workgroup_info 0
		.amdhsa_system_vgpr_workitem_id 0
		.amdhsa_next_free_vgpr 12
		.amdhsa_next_free_sgpr 28
		.amdhsa_reserve_vcc 1
		.amdhsa_reserve_flat_scratch 0
		.amdhsa_float_round_mode_32 0
		.amdhsa_float_round_mode_16_64 0
		.amdhsa_float_denorm_mode_32 3
		.amdhsa_float_denorm_mode_16_64 3
		.amdhsa_dx10_clamp 1
		.amdhsa_ieee_mode 1
		.amdhsa_fp16_overflow 0
		.amdhsa_exception_fp_ieee_invalid_op 0
		.amdhsa_exception_fp_denorm_src 0
		.amdhsa_exception_fp_ieee_div_zero 0
		.amdhsa_exception_fp_ieee_overflow 0
		.amdhsa_exception_fp_ieee_underflow 0
		.amdhsa_exception_fp_ieee_inexact 0
		.amdhsa_exception_int_div_zero 0
	.end_amdhsa_kernel
	.section	.text._ZN2at6native12_GLOBAL__N_130MultiMarginLoss_forward_kernelILi2EdEEvPT0_PKS3_PKlS6_iibS3_,"axG",@progbits,_ZN2at6native12_GLOBAL__N_130MultiMarginLoss_forward_kernelILi2EdEEvPT0_PKS3_PKlS6_iibS3_,comdat
.Lfunc_end1:
	.size	_ZN2at6native12_GLOBAL__N_130MultiMarginLoss_forward_kernelILi2EdEEvPT0_PKS3_PKlS6_iibS3_, .Lfunc_end1-_ZN2at6native12_GLOBAL__N_130MultiMarginLoss_forward_kernelILi2EdEEvPT0_PKS3_PKlS6_iibS3_
                                        ; -- End function
	.set _ZN2at6native12_GLOBAL__N_130MultiMarginLoss_forward_kernelILi2EdEEvPT0_PKS3_PKlS6_iibS3_.num_vgpr, 12
	.set _ZN2at6native12_GLOBAL__N_130MultiMarginLoss_forward_kernelILi2EdEEvPT0_PKS3_PKlS6_iibS3_.num_agpr, 0
	.set _ZN2at6native12_GLOBAL__N_130MultiMarginLoss_forward_kernelILi2EdEEvPT0_PKS3_PKlS6_iibS3_.numbered_sgpr, 28
	.set _ZN2at6native12_GLOBAL__N_130MultiMarginLoss_forward_kernelILi2EdEEvPT0_PKS3_PKlS6_iibS3_.num_named_barrier, 0
	.set _ZN2at6native12_GLOBAL__N_130MultiMarginLoss_forward_kernelILi2EdEEvPT0_PKS3_PKlS6_iibS3_.private_seg_size, 0
	.set _ZN2at6native12_GLOBAL__N_130MultiMarginLoss_forward_kernelILi2EdEEvPT0_PKS3_PKlS6_iibS3_.uses_vcc, 1
	.set _ZN2at6native12_GLOBAL__N_130MultiMarginLoss_forward_kernelILi2EdEEvPT0_PKS3_PKlS6_iibS3_.uses_flat_scratch, 0
	.set _ZN2at6native12_GLOBAL__N_130MultiMarginLoss_forward_kernelILi2EdEEvPT0_PKS3_PKlS6_iibS3_.has_dyn_sized_stack, 0
	.set _ZN2at6native12_GLOBAL__N_130MultiMarginLoss_forward_kernelILi2EdEEvPT0_PKS3_PKlS6_iibS3_.has_recursion, 0
	.set _ZN2at6native12_GLOBAL__N_130MultiMarginLoss_forward_kernelILi2EdEEvPT0_PKS3_PKlS6_iibS3_.has_indirect_call, 0
	.section	.AMDGPU.csdata,"",@progbits
; Kernel info:
; codeLenInByte = 876
; TotalNumSgprs: 32
; NumVgprs: 12
; ScratchSize: 0
; MemoryBound: 1
; FloatMode: 240
; IeeeMode: 1
; LDSByteSize: 1024 bytes/workgroup (compile time only)
; SGPRBlocks: 3
; VGPRBlocks: 2
; NumSGPRsForWavesPerEU: 32
; NumVGPRsForWavesPerEU: 12
; Occupancy: 10
; WaveLimiterHint : 1
; COMPUTE_PGM_RSRC2:SCRATCH_EN: 0
; COMPUTE_PGM_RSRC2:USER_SGPR: 6
; COMPUTE_PGM_RSRC2:TRAP_HANDLER: 0
; COMPUTE_PGM_RSRC2:TGID_X_EN: 1
; COMPUTE_PGM_RSRC2:TGID_Y_EN: 0
; COMPUTE_PGM_RSRC2:TGID_Z_EN: 0
; COMPUTE_PGM_RSRC2:TIDIG_COMP_CNT: 0
	.section	.text._ZN2at6native12_GLOBAL__N_130MultiMarginLoss_forward_kernelILi1EfEEvPT0_PKS3_PKlS6_iibS3_,"axG",@progbits,_ZN2at6native12_GLOBAL__N_130MultiMarginLoss_forward_kernelILi1EfEEvPT0_PKS3_PKlS6_iibS3_,comdat
	.globl	_ZN2at6native12_GLOBAL__N_130MultiMarginLoss_forward_kernelILi1EfEEvPT0_PKS3_PKlS6_iibS3_ ; -- Begin function _ZN2at6native12_GLOBAL__N_130MultiMarginLoss_forward_kernelILi1EfEEvPT0_PKS3_PKlS6_iibS3_
	.p2align	8
	.type	_ZN2at6native12_GLOBAL__N_130MultiMarginLoss_forward_kernelILi1EfEEvPT0_PKS3_PKlS6_iibS3_,@function
_ZN2at6native12_GLOBAL__N_130MultiMarginLoss_forward_kernelILi1EfEEvPT0_PKS3_PKlS6_iibS3_: ; @_ZN2at6native12_GLOBAL__N_130MultiMarginLoss_forward_kernelILi1EfEEvPT0_PKS3_PKlS6_iibS3_
; %bb.0:
	s_load_dwordx8 s[8:15], s[4:5], 0x0
	s_ashr_i32 s7, s6, 31
	s_lshl_b64 s[0:1], s[6:7], 3
	s_waitcnt lgkmcnt(0)
	s_add_u32 s0, s12, s0
	s_addc_u32 s1, s13, s1
	s_load_dwordx2 s[20:21], s[0:1], 0x0
	s_waitcnt lgkmcnt(0)
	s_cmp_lt_i32 s20, 0
	s_cbranch_scc1 .LBB2_23
; %bb.1:
	s_load_dwordx4 s[16:19], s[4:5], 0x20
	s_waitcnt lgkmcnt(0)
	s_cmp_le_i32 s17, s20
	s_cselect_b64 s[0:1], -1, 0
	s_getpc_b64 s[2:3]
	s_add_u32 s2, s2, .str@rel32@lo+4
	s_addc_u32 s3, s3, .str@rel32@hi+12
	s_cmp_eq_u64 s[2:3], 0
	s_cselect_b64 s[2:3], -1, 0
	s_or_b64 s[12:13], s[0:1], s[2:3]
	s_andn2_b64 vcc, exec, s[12:13]
	s_cbranch_vccz .LBB2_21
; %bb.2:
	s_load_dword s0, s[4:5], 0x3c
	v_lshlrev_b32_e32 v3, 2, v0
	v_mov_b32_e32 v4, 0
	v_cmp_gt_u32_e32 vcc, s17, v0
	ds_write_b32 v3, v4
	s_waitcnt lgkmcnt(0)
	s_and_b32 s22, s0, 0xffff
	s_and_saveexec_b64 s[4:5], vcc
	s_cbranch_execz .LBB2_9
; %bb.3:
	s_mul_i32 s0, s17, s6
	s_ashr_i32 s1, s0, 31
	s_lshl_b64 s[0:1], s[0:1], 2
	s_add_u32 s23, s10, s0
	s_addc_u32 s24, s11, s1
	s_lshl_b64 s[0:1], s[20:21], 2
	s_and_b32 s1, s1, 1
	s_add_u32 s2, s23, s0
	s_addc_u32 s3, s24, s1
	s_load_dword s21, s[2:3], 0x0
	s_cmp_lg_u64 s[14:15], 0
	s_cselect_b64 s[2:3], -1, 0
	s_add_u32 s14, s14, s0
	v_mov_b32_e32 v2, s24
	s_waitcnt lgkmcnt(0)
	v_mov_b32_e32 v1, s21
	v_sub_f32_e32 v5, s19, v1
	v_add_co_u32_e32 v1, vcc, s23, v3
	v_cndmask_b32_e64 v6, 0, 1, s[2:3]
	s_mov_b64 s[10:11], 0
	s_addc_u32 s15, s15, s1
	v_addc_co_u32_e32 v2, vcc, 0, v2, vcc
	s_lshl_b32 s19, s22, 2
	v_cmp_ne_u32_e64 s[0:1], 1, v6
	v_mov_b32_e32 v6, v0
	s_branch .LBB2_6
.LBB2_4:                                ;   in Loop: Header=BB2_6 Depth=1
	v_add_f32_e32 v4, v7, v4
	ds_write_b32 v3, v4
.LBB2_5:                                ;   in Loop: Header=BB2_6 Depth=1
	s_or_b64 exec, exec, s[2:3]
	v_add_u32_e32 v6, s22, v6
	v_cmp_le_i32_e32 vcc, s17, v6
	s_or_b64 s[10:11], vcc, s[10:11]
	v_add_co_u32_e32 v1, vcc, s19, v1
	v_addc_co_u32_e32 v2, vcc, 0, v2, vcc
	s_andn2_b64 exec, exec, s[10:11]
	s_cbranch_execz .LBB2_9
.LBB2_6:                                ; =>This Inner Loop Header: Depth=1
	global_load_dword v7, v[1:2], off
	v_cmp_ne_u32_e32 vcc, s20, v6
	s_waitcnt vmcnt(0)
	v_add_f32_e32 v7, v5, v7
	v_cmp_lt_f32_e64 s[2:3], 0, v7
	s_and_b64 s[24:25], vcc, s[2:3]
	s_and_saveexec_b64 s[2:3], s[24:25]
	s_cbranch_execz .LBB2_5
; %bb.7:                                ;   in Loop: Header=BB2_6 Depth=1
	s_and_b64 vcc, exec, s[0:1]
	s_cbranch_vccnz .LBB2_4
; %bb.8:                                ;   in Loop: Header=BB2_6 Depth=1
	s_load_dword s21, s[14:15], 0x0
	s_waitcnt lgkmcnt(0)
	v_mul_f32_e32 v7, s21, v7
	s_branch .LBB2_4
.LBB2_9:
	s_or_b64 exec, exec, s[4:5]
	v_cmp_eq_u32_e32 vcc, 0, v0
	s_waitcnt lgkmcnt(0)
	s_barrier
	s_and_saveexec_b64 s[0:1], vcc
	s_cbranch_execz .LBB2_20
; %bb.10:
	s_cmp_eq_u32 s22, 0
	s_cbranch_scc1 .LBB2_15
; %bb.11:
	s_cmp_lt_u32 s22, 8
	s_cbranch_scc1 .LBB2_16
; %bb.12:
	s_and_b32 s2, s22, 0xfff8
	s_mov_b32 s3, 0
	v_mov_b32_e32 v0, 0
	s_mov_b32 s4, 0
.LBB2_13:                               ; =>This Inner Loop Header: Depth=1
	v_mov_b32_e32 v5, s3
	ds_read_b128 v[1:4], v5
	ds_read_b128 v[5:8], v5 offset:16
	s_add_i32 s4, s4, 8
	s_add_i32 s3, s3, 32
	s_cmp_eq_u32 s2, s4
	s_waitcnt lgkmcnt(1)
	v_add_f32_e32 v0, v0, v1
	v_add_f32_e32 v0, v0, v2
	;; [unrolled: 1-line block ×4, first 2 shown]
	s_waitcnt lgkmcnt(0)
	v_add_f32_e32 v0, v0, v5
	v_add_f32_e32 v0, v0, v6
	;; [unrolled: 1-line block ×4, first 2 shown]
	s_cbranch_scc0 .LBB2_13
; %bb.14:
	s_and_b32 s3, s22, 7
	s_cmp_eq_u32 s3, 0
	s_cbranch_scc0 .LBB2_17
	s_branch .LBB2_19
.LBB2_15:
	v_mov_b32_e32 v0, 0
	s_branch .LBB2_19
.LBB2_16:
	s_mov_b32 s2, 0
	v_mov_b32_e32 v0, 0
	s_and_b32 s3, s22, 7
	s_cmp_eq_u32 s3, 0
	s_cbranch_scc1 .LBB2_19
.LBB2_17:
	s_lshl_b32 s2, s2, 2
.LBB2_18:                               ; =>This Inner Loop Header: Depth=1
	v_mov_b32_e32 v1, s2
	ds_read_b32 v1, v1
	s_add_i32 s2, s2, 4
	s_add_i32 s3, s3, -1
	s_cmp_lg_u32 s3, 0
	s_waitcnt lgkmcnt(0)
	v_add_f32_e32 v0, v0, v1
	s_cbranch_scc1 .LBB2_18
.LBB2_19:
	s_and_b32 s4, 1, s18
	s_lshl_b64 s[2:3], s[6:7], 2
	s_add_u32 s2, s8, s2
	s_addc_u32 s3, s9, s3
	s_cmp_eq_u32 s4, 1
	s_cselect_b32 s4, s16, 1
	s_mul_i32 s4, s4, s17
	v_cvt_f32_i32_e32 v1, s4
	v_div_scale_f32 v2, s[4:5], v1, v1, v0
	v_div_scale_f32 v3, vcc, v0, v1, v0
	v_rcp_f32_e32 v4, v2
	v_fma_f32 v5, -v2, v4, 1.0
	v_fmac_f32_e32 v4, v5, v4
	v_mul_f32_e32 v5, v3, v4
	v_fma_f32 v6, -v2, v5, v3
	v_fmac_f32_e32 v5, v6, v4
	v_fma_f32 v2, -v2, v5, v3
	v_div_fmas_f32 v2, v2, v4, v5
	v_mov_b32_e32 v3, 0
	v_div_fixup_f32 v0, v2, v1, v0
	global_store_dword v3, v0, s[2:3]
.LBB2_20:
	s_or_b64 exec, exec, s[0:1]
.LBB2_21:
	s_and_b64 vcc, exec, s[12:13]
	s_cbranch_vccnz .LBB2_24
.LBB2_22:
	s_endpgm
.LBB2_23:
	s_cbranch_execz .LBB2_22
.LBB2_24:
	s_trap 2
	; divergent unreachable
	s_endpgm
	.section	.rodata,"a",@progbits
	.p2align	6, 0x0
	.amdhsa_kernel _ZN2at6native12_GLOBAL__N_130MultiMarginLoss_forward_kernelILi1EfEEvPT0_PKS3_PKlS6_iibS3_
		.amdhsa_group_segment_fixed_size 512
		.amdhsa_private_segment_fixed_size 0
		.amdhsa_kernarg_size 304
		.amdhsa_user_sgpr_count 6
		.amdhsa_user_sgpr_private_segment_buffer 1
		.amdhsa_user_sgpr_dispatch_ptr 0
		.amdhsa_user_sgpr_queue_ptr 0
		.amdhsa_user_sgpr_kernarg_segment_ptr 1
		.amdhsa_user_sgpr_dispatch_id 0
		.amdhsa_user_sgpr_flat_scratch_init 0
		.amdhsa_user_sgpr_private_segment_size 0
		.amdhsa_uses_dynamic_stack 0
		.amdhsa_system_sgpr_private_segment_wavefront_offset 0
		.amdhsa_system_sgpr_workgroup_id_x 1
		.amdhsa_system_sgpr_workgroup_id_y 0
		.amdhsa_system_sgpr_workgroup_id_z 0
		.amdhsa_system_sgpr_workgroup_info 0
		.amdhsa_system_vgpr_workitem_id 0
		.amdhsa_next_free_vgpr 9
		.amdhsa_next_free_sgpr 26
		.amdhsa_reserve_vcc 1
		.amdhsa_reserve_flat_scratch 0
		.amdhsa_float_round_mode_32 0
		.amdhsa_float_round_mode_16_64 0
		.amdhsa_float_denorm_mode_32 3
		.amdhsa_float_denorm_mode_16_64 3
		.amdhsa_dx10_clamp 1
		.amdhsa_ieee_mode 1
		.amdhsa_fp16_overflow 0
		.amdhsa_exception_fp_ieee_invalid_op 0
		.amdhsa_exception_fp_denorm_src 0
		.amdhsa_exception_fp_ieee_div_zero 0
		.amdhsa_exception_fp_ieee_overflow 0
		.amdhsa_exception_fp_ieee_underflow 0
		.amdhsa_exception_fp_ieee_inexact 0
		.amdhsa_exception_int_div_zero 0
	.end_amdhsa_kernel
	.section	.text._ZN2at6native12_GLOBAL__N_130MultiMarginLoss_forward_kernelILi1EfEEvPT0_PKS3_PKlS6_iibS3_,"axG",@progbits,_ZN2at6native12_GLOBAL__N_130MultiMarginLoss_forward_kernelILi1EfEEvPT0_PKS3_PKlS6_iibS3_,comdat
.Lfunc_end2:
	.size	_ZN2at6native12_GLOBAL__N_130MultiMarginLoss_forward_kernelILi1EfEEvPT0_PKS3_PKlS6_iibS3_, .Lfunc_end2-_ZN2at6native12_GLOBAL__N_130MultiMarginLoss_forward_kernelILi1EfEEvPT0_PKS3_PKlS6_iibS3_
                                        ; -- End function
	.set _ZN2at6native12_GLOBAL__N_130MultiMarginLoss_forward_kernelILi1EfEEvPT0_PKS3_PKlS6_iibS3_.num_vgpr, 9
	.set _ZN2at6native12_GLOBAL__N_130MultiMarginLoss_forward_kernelILi1EfEEvPT0_PKS3_PKlS6_iibS3_.num_agpr, 0
	.set _ZN2at6native12_GLOBAL__N_130MultiMarginLoss_forward_kernelILi1EfEEvPT0_PKS3_PKlS6_iibS3_.numbered_sgpr, 26
	.set _ZN2at6native12_GLOBAL__N_130MultiMarginLoss_forward_kernelILi1EfEEvPT0_PKS3_PKlS6_iibS3_.num_named_barrier, 0
	.set _ZN2at6native12_GLOBAL__N_130MultiMarginLoss_forward_kernelILi1EfEEvPT0_PKS3_PKlS6_iibS3_.private_seg_size, 0
	.set _ZN2at6native12_GLOBAL__N_130MultiMarginLoss_forward_kernelILi1EfEEvPT0_PKS3_PKlS6_iibS3_.uses_vcc, 1
	.set _ZN2at6native12_GLOBAL__N_130MultiMarginLoss_forward_kernelILi1EfEEvPT0_PKS3_PKlS6_iibS3_.uses_flat_scratch, 0
	.set _ZN2at6native12_GLOBAL__N_130MultiMarginLoss_forward_kernelILi1EfEEvPT0_PKS3_PKlS6_iibS3_.has_dyn_sized_stack, 0
	.set _ZN2at6native12_GLOBAL__N_130MultiMarginLoss_forward_kernelILi1EfEEvPT0_PKS3_PKlS6_iibS3_.has_recursion, 0
	.set _ZN2at6native12_GLOBAL__N_130MultiMarginLoss_forward_kernelILi1EfEEvPT0_PKS3_PKlS6_iibS3_.has_indirect_call, 0
	.section	.AMDGPU.csdata,"",@progbits
; Kernel info:
; codeLenInByte = 748
; TotalNumSgprs: 30
; NumVgprs: 9
; ScratchSize: 0
; MemoryBound: 0
; FloatMode: 240
; IeeeMode: 1
; LDSByteSize: 512 bytes/workgroup (compile time only)
; SGPRBlocks: 3
; VGPRBlocks: 2
; NumSGPRsForWavesPerEU: 30
; NumVGPRsForWavesPerEU: 9
; Occupancy: 10
; WaveLimiterHint : 1
; COMPUTE_PGM_RSRC2:SCRATCH_EN: 0
; COMPUTE_PGM_RSRC2:USER_SGPR: 6
; COMPUTE_PGM_RSRC2:TRAP_HANDLER: 0
; COMPUTE_PGM_RSRC2:TGID_X_EN: 1
; COMPUTE_PGM_RSRC2:TGID_Y_EN: 0
; COMPUTE_PGM_RSRC2:TGID_Z_EN: 0
; COMPUTE_PGM_RSRC2:TIDIG_COMP_CNT: 0
	.section	.text._ZN2at6native12_GLOBAL__N_130MultiMarginLoss_forward_kernelILi2EfEEvPT0_PKS3_PKlS6_iibS3_,"axG",@progbits,_ZN2at6native12_GLOBAL__N_130MultiMarginLoss_forward_kernelILi2EfEEvPT0_PKS3_PKlS6_iibS3_,comdat
	.globl	_ZN2at6native12_GLOBAL__N_130MultiMarginLoss_forward_kernelILi2EfEEvPT0_PKS3_PKlS6_iibS3_ ; -- Begin function _ZN2at6native12_GLOBAL__N_130MultiMarginLoss_forward_kernelILi2EfEEvPT0_PKS3_PKlS6_iibS3_
	.p2align	8
	.type	_ZN2at6native12_GLOBAL__N_130MultiMarginLoss_forward_kernelILi2EfEEvPT0_PKS3_PKlS6_iibS3_,@function
_ZN2at6native12_GLOBAL__N_130MultiMarginLoss_forward_kernelILi2EfEEvPT0_PKS3_PKlS6_iibS3_: ; @_ZN2at6native12_GLOBAL__N_130MultiMarginLoss_forward_kernelILi2EfEEvPT0_PKS3_PKlS6_iibS3_
; %bb.0:
	s_load_dwordx8 s[8:15], s[4:5], 0x0
	s_ashr_i32 s7, s6, 31
	s_lshl_b64 s[0:1], s[6:7], 3
	s_waitcnt lgkmcnt(0)
	s_add_u32 s0, s12, s0
	s_addc_u32 s1, s13, s1
	s_load_dwordx2 s[20:21], s[0:1], 0x0
	s_waitcnt lgkmcnt(0)
	s_cmp_lt_i32 s20, 0
	s_cbranch_scc1 .LBB3_23
; %bb.1:
	s_load_dwordx4 s[16:19], s[4:5], 0x20
	s_waitcnt lgkmcnt(0)
	s_cmp_le_i32 s17, s20
	s_cselect_b64 s[0:1], -1, 0
	s_getpc_b64 s[2:3]
	s_add_u32 s2, s2, .str@rel32@lo+4
	s_addc_u32 s3, s3, .str@rel32@hi+12
	s_cmp_eq_u64 s[2:3], 0
	s_cselect_b64 s[2:3], -1, 0
	s_or_b64 s[12:13], s[0:1], s[2:3]
	s_andn2_b64 vcc, exec, s[12:13]
	s_cbranch_vccz .LBB3_21
; %bb.2:
	s_load_dword s0, s[4:5], 0x3c
	v_lshlrev_b32_e32 v3, 2, v0
	v_mov_b32_e32 v4, 0
	v_cmp_gt_u32_e32 vcc, s17, v0
	ds_write_b32 v3, v4
	s_waitcnt lgkmcnt(0)
	s_and_b32 s22, s0, 0xffff
	s_and_saveexec_b64 s[4:5], vcc
	s_cbranch_execz .LBB3_9
; %bb.3:
	s_mul_i32 s0, s17, s6
	s_ashr_i32 s1, s0, 31
	s_lshl_b64 s[0:1], s[0:1], 2
	s_add_u32 s23, s10, s0
	s_addc_u32 s24, s11, s1
	s_lshl_b64 s[0:1], s[20:21], 2
	s_and_b32 s1, s1, 1
	s_add_u32 s2, s23, s0
	s_addc_u32 s3, s24, s1
	s_load_dword s21, s[2:3], 0x0
	s_cmp_lg_u64 s[14:15], 0
	s_cselect_b64 s[2:3], -1, 0
	s_add_u32 s14, s14, s0
	v_mov_b32_e32 v2, s24
	s_waitcnt lgkmcnt(0)
	v_mov_b32_e32 v1, s21
	v_sub_f32_e32 v5, s19, v1
	v_add_co_u32_e32 v1, vcc, s23, v3
	v_cndmask_b32_e64 v6, 0, 1, s[2:3]
	s_mov_b64 s[10:11], 0
	s_addc_u32 s15, s15, s1
	v_addc_co_u32_e32 v2, vcc, 0, v2, vcc
	s_lshl_b32 s19, s22, 2
	v_cmp_ne_u32_e64 s[0:1], 1, v6
	v_mov_b32_e32 v6, v0
	s_branch .LBB3_6
.LBB3_4:                                ;   in Loop: Header=BB3_6 Depth=1
	v_add_f32_e32 v4, v7, v4
	ds_write_b32 v3, v4
.LBB3_5:                                ;   in Loop: Header=BB3_6 Depth=1
	s_or_b64 exec, exec, s[2:3]
	v_add_u32_e32 v6, s22, v6
	v_cmp_le_i32_e32 vcc, s17, v6
	s_or_b64 s[10:11], vcc, s[10:11]
	v_add_co_u32_e32 v1, vcc, s19, v1
	v_addc_co_u32_e32 v2, vcc, 0, v2, vcc
	s_andn2_b64 exec, exec, s[10:11]
	s_cbranch_execz .LBB3_9
.LBB3_6:                                ; =>This Inner Loop Header: Depth=1
	global_load_dword v7, v[1:2], off
	v_cmp_ne_u32_e32 vcc, s20, v6
	s_waitcnt vmcnt(0)
	v_add_f32_e32 v7, v5, v7
	v_cmp_lt_f32_e64 s[2:3], 0, v7
	s_and_b64 s[24:25], vcc, s[2:3]
	s_and_saveexec_b64 s[2:3], s[24:25]
	s_cbranch_execz .LBB3_5
; %bb.7:                                ;   in Loop: Header=BB3_6 Depth=1
	s_and_b64 vcc, exec, s[0:1]
	v_mul_f32_e32 v7, v7, v7
	s_cbranch_vccnz .LBB3_4
; %bb.8:                                ;   in Loop: Header=BB3_6 Depth=1
	s_load_dword s21, s[14:15], 0x0
	s_waitcnt lgkmcnt(0)
	v_mul_f32_e32 v7, s21, v7
	s_branch .LBB3_4
.LBB3_9:
	s_or_b64 exec, exec, s[4:5]
	v_cmp_eq_u32_e32 vcc, 0, v0
	s_waitcnt lgkmcnt(0)
	s_barrier
	s_and_saveexec_b64 s[0:1], vcc
	s_cbranch_execz .LBB3_20
; %bb.10:
	s_cmp_eq_u32 s22, 0
	s_cbranch_scc1 .LBB3_15
; %bb.11:
	s_cmp_lt_u32 s22, 8
	s_cbranch_scc1 .LBB3_16
; %bb.12:
	s_and_b32 s2, s22, 0xfff8
	s_mov_b32 s3, 0
	v_mov_b32_e32 v0, 0
	s_mov_b32 s4, 0
.LBB3_13:                               ; =>This Inner Loop Header: Depth=1
	v_mov_b32_e32 v5, s3
	ds_read_b128 v[1:4], v5
	ds_read_b128 v[5:8], v5 offset:16
	s_add_i32 s4, s4, 8
	s_add_i32 s3, s3, 32
	s_cmp_eq_u32 s2, s4
	s_waitcnt lgkmcnt(1)
	v_add_f32_e32 v0, v0, v1
	v_add_f32_e32 v0, v0, v2
	;; [unrolled: 1-line block ×4, first 2 shown]
	s_waitcnt lgkmcnt(0)
	v_add_f32_e32 v0, v0, v5
	v_add_f32_e32 v0, v0, v6
	;; [unrolled: 1-line block ×4, first 2 shown]
	s_cbranch_scc0 .LBB3_13
; %bb.14:
	s_and_b32 s3, s22, 7
	s_cmp_eq_u32 s3, 0
	s_cbranch_scc0 .LBB3_17
	s_branch .LBB3_19
.LBB3_15:
	v_mov_b32_e32 v0, 0
	s_branch .LBB3_19
.LBB3_16:
	s_mov_b32 s2, 0
	v_mov_b32_e32 v0, 0
	s_and_b32 s3, s22, 7
	s_cmp_eq_u32 s3, 0
	s_cbranch_scc1 .LBB3_19
.LBB3_17:
	s_lshl_b32 s2, s2, 2
.LBB3_18:                               ; =>This Inner Loop Header: Depth=1
	v_mov_b32_e32 v1, s2
	ds_read_b32 v1, v1
	s_add_i32 s2, s2, 4
	s_add_i32 s3, s3, -1
	s_cmp_lg_u32 s3, 0
	s_waitcnt lgkmcnt(0)
	v_add_f32_e32 v0, v0, v1
	s_cbranch_scc1 .LBB3_18
.LBB3_19:
	s_and_b32 s4, 1, s18
	s_lshl_b64 s[2:3], s[6:7], 2
	s_add_u32 s2, s8, s2
	s_addc_u32 s3, s9, s3
	s_cmp_eq_u32 s4, 1
	s_cselect_b32 s4, s16, 1
	s_mul_i32 s4, s4, s17
	v_cvt_f32_i32_e32 v1, s4
	v_div_scale_f32 v2, s[4:5], v1, v1, v0
	v_div_scale_f32 v3, vcc, v0, v1, v0
	v_rcp_f32_e32 v4, v2
	v_fma_f32 v5, -v2, v4, 1.0
	v_fmac_f32_e32 v4, v5, v4
	v_mul_f32_e32 v5, v3, v4
	v_fma_f32 v6, -v2, v5, v3
	v_fmac_f32_e32 v5, v6, v4
	v_fma_f32 v2, -v2, v5, v3
	v_div_fmas_f32 v2, v2, v4, v5
	v_mov_b32_e32 v3, 0
	v_div_fixup_f32 v0, v2, v1, v0
	global_store_dword v3, v0, s[2:3]
.LBB3_20:
	s_or_b64 exec, exec, s[0:1]
.LBB3_21:
	s_and_b64 vcc, exec, s[12:13]
	s_cbranch_vccnz .LBB3_24
.LBB3_22:
	s_endpgm
.LBB3_23:
	s_cbranch_execz .LBB3_22
.LBB3_24:
	s_trap 2
	; divergent unreachable
	s_endpgm
	.section	.rodata,"a",@progbits
	.p2align	6, 0x0
	.amdhsa_kernel _ZN2at6native12_GLOBAL__N_130MultiMarginLoss_forward_kernelILi2EfEEvPT0_PKS3_PKlS6_iibS3_
		.amdhsa_group_segment_fixed_size 512
		.amdhsa_private_segment_fixed_size 0
		.amdhsa_kernarg_size 304
		.amdhsa_user_sgpr_count 6
		.amdhsa_user_sgpr_private_segment_buffer 1
		.amdhsa_user_sgpr_dispatch_ptr 0
		.amdhsa_user_sgpr_queue_ptr 0
		.amdhsa_user_sgpr_kernarg_segment_ptr 1
		.amdhsa_user_sgpr_dispatch_id 0
		.amdhsa_user_sgpr_flat_scratch_init 0
		.amdhsa_user_sgpr_private_segment_size 0
		.amdhsa_uses_dynamic_stack 0
		.amdhsa_system_sgpr_private_segment_wavefront_offset 0
		.amdhsa_system_sgpr_workgroup_id_x 1
		.amdhsa_system_sgpr_workgroup_id_y 0
		.amdhsa_system_sgpr_workgroup_id_z 0
		.amdhsa_system_sgpr_workgroup_info 0
		.amdhsa_system_vgpr_workitem_id 0
		.amdhsa_next_free_vgpr 9
		.amdhsa_next_free_sgpr 26
		.amdhsa_reserve_vcc 1
		.amdhsa_reserve_flat_scratch 0
		.amdhsa_float_round_mode_32 0
		.amdhsa_float_round_mode_16_64 0
		.amdhsa_float_denorm_mode_32 3
		.amdhsa_float_denorm_mode_16_64 3
		.amdhsa_dx10_clamp 1
		.amdhsa_ieee_mode 1
		.amdhsa_fp16_overflow 0
		.amdhsa_exception_fp_ieee_invalid_op 0
		.amdhsa_exception_fp_denorm_src 0
		.amdhsa_exception_fp_ieee_div_zero 0
		.amdhsa_exception_fp_ieee_overflow 0
		.amdhsa_exception_fp_ieee_underflow 0
		.amdhsa_exception_fp_ieee_inexact 0
		.amdhsa_exception_int_div_zero 0
	.end_amdhsa_kernel
	.section	.text._ZN2at6native12_GLOBAL__N_130MultiMarginLoss_forward_kernelILi2EfEEvPT0_PKS3_PKlS6_iibS3_,"axG",@progbits,_ZN2at6native12_GLOBAL__N_130MultiMarginLoss_forward_kernelILi2EfEEvPT0_PKS3_PKlS6_iibS3_,comdat
.Lfunc_end3:
	.size	_ZN2at6native12_GLOBAL__N_130MultiMarginLoss_forward_kernelILi2EfEEvPT0_PKS3_PKlS6_iibS3_, .Lfunc_end3-_ZN2at6native12_GLOBAL__N_130MultiMarginLoss_forward_kernelILi2EfEEvPT0_PKS3_PKlS6_iibS3_
                                        ; -- End function
	.set _ZN2at6native12_GLOBAL__N_130MultiMarginLoss_forward_kernelILi2EfEEvPT0_PKS3_PKlS6_iibS3_.num_vgpr, 9
	.set _ZN2at6native12_GLOBAL__N_130MultiMarginLoss_forward_kernelILi2EfEEvPT0_PKS3_PKlS6_iibS3_.num_agpr, 0
	.set _ZN2at6native12_GLOBAL__N_130MultiMarginLoss_forward_kernelILi2EfEEvPT0_PKS3_PKlS6_iibS3_.numbered_sgpr, 26
	.set _ZN2at6native12_GLOBAL__N_130MultiMarginLoss_forward_kernelILi2EfEEvPT0_PKS3_PKlS6_iibS3_.num_named_barrier, 0
	.set _ZN2at6native12_GLOBAL__N_130MultiMarginLoss_forward_kernelILi2EfEEvPT0_PKS3_PKlS6_iibS3_.private_seg_size, 0
	.set _ZN2at6native12_GLOBAL__N_130MultiMarginLoss_forward_kernelILi2EfEEvPT0_PKS3_PKlS6_iibS3_.uses_vcc, 1
	.set _ZN2at6native12_GLOBAL__N_130MultiMarginLoss_forward_kernelILi2EfEEvPT0_PKS3_PKlS6_iibS3_.uses_flat_scratch, 0
	.set _ZN2at6native12_GLOBAL__N_130MultiMarginLoss_forward_kernelILi2EfEEvPT0_PKS3_PKlS6_iibS3_.has_dyn_sized_stack, 0
	.set _ZN2at6native12_GLOBAL__N_130MultiMarginLoss_forward_kernelILi2EfEEvPT0_PKS3_PKlS6_iibS3_.has_recursion, 0
	.set _ZN2at6native12_GLOBAL__N_130MultiMarginLoss_forward_kernelILi2EfEEvPT0_PKS3_PKlS6_iibS3_.has_indirect_call, 0
	.section	.AMDGPU.csdata,"",@progbits
; Kernel info:
; codeLenInByte = 752
; TotalNumSgprs: 30
; NumVgprs: 9
; ScratchSize: 0
; MemoryBound: 0
; FloatMode: 240
; IeeeMode: 1
; LDSByteSize: 512 bytes/workgroup (compile time only)
; SGPRBlocks: 3
; VGPRBlocks: 2
; NumSGPRsForWavesPerEU: 30
; NumVGPRsForWavesPerEU: 9
; Occupancy: 10
; WaveLimiterHint : 1
; COMPUTE_PGM_RSRC2:SCRATCH_EN: 0
; COMPUTE_PGM_RSRC2:USER_SGPR: 6
; COMPUTE_PGM_RSRC2:TRAP_HANDLER: 0
; COMPUTE_PGM_RSRC2:TGID_X_EN: 1
; COMPUTE_PGM_RSRC2:TGID_Y_EN: 0
; COMPUTE_PGM_RSRC2:TGID_Z_EN: 0
; COMPUTE_PGM_RSRC2:TIDIG_COMP_CNT: 0
	.section	.text._ZN2at6native12_GLOBAL__N_130MultiMarginLoss_forward_kernelILi1EN3c104HalfEEEvPT0_PKS5_PKlS8_iibS5_,"axG",@progbits,_ZN2at6native12_GLOBAL__N_130MultiMarginLoss_forward_kernelILi1EN3c104HalfEEEvPT0_PKS5_PKlS8_iibS5_,comdat
	.globl	_ZN2at6native12_GLOBAL__N_130MultiMarginLoss_forward_kernelILi1EN3c104HalfEEEvPT0_PKS5_PKlS8_iibS5_ ; -- Begin function _ZN2at6native12_GLOBAL__N_130MultiMarginLoss_forward_kernelILi1EN3c104HalfEEEvPT0_PKS5_PKlS8_iibS5_
	.p2align	8
	.type	_ZN2at6native12_GLOBAL__N_130MultiMarginLoss_forward_kernelILi1EN3c104HalfEEEvPT0_PKS5_PKlS8_iibS5_,@function
_ZN2at6native12_GLOBAL__N_130MultiMarginLoss_forward_kernelILi1EN3c104HalfEEEvPT0_PKS5_PKlS8_iibS5_: ; @_ZN2at6native12_GLOBAL__N_130MultiMarginLoss_forward_kernelILi1EN3c104HalfEEEvPT0_PKS5_PKlS8_iibS5_
; %bb.0:
	s_load_dwordx8 s[8:15], s[4:5], 0x0
	s_ashr_i32 s7, s6, 31
	s_lshl_b64 s[0:1], s[6:7], 3
	s_waitcnt lgkmcnt(0)
	s_add_u32 s0, s12, s0
	s_addc_u32 s1, s13, s1
	s_load_dwordx2 s[20:21], s[0:1], 0x0
	s_waitcnt lgkmcnt(0)
	s_cmp_lt_i32 s20, 0
	s_cbranch_scc1 .LBB4_23
; %bb.1:
	s_load_dwordx4 s[16:19], s[4:5], 0x20
	s_waitcnt lgkmcnt(0)
	s_cmp_le_i32 s17, s20
	s_cselect_b64 s[0:1], -1, 0
	s_getpc_b64 s[2:3]
	s_add_u32 s2, s2, .str@rel32@lo+4
	s_addc_u32 s3, s3, .str@rel32@hi+12
	s_cmp_eq_u64 s[2:3], 0
	s_cselect_b64 s[2:3], -1, 0
	s_or_b64 s[12:13], s[0:1], s[2:3]
	s_andn2_b64 vcc, exec, s[12:13]
	s_cbranch_vccz .LBB4_21
; %bb.2:
	s_load_dword s0, s[4:5], 0x3c
	v_lshlrev_b32_e32 v3, 2, v0
	v_mov_b32_e32 v4, 0
	v_cmp_gt_u32_e32 vcc, s17, v0
	ds_write_b32 v3, v4
	s_waitcnt lgkmcnt(0)
	s_and_b32 s19, s0, 0xffff
	s_and_saveexec_b64 s[22:23], vcc
	s_cbranch_execz .LBB4_9
; %bb.3:
	s_mul_i32 s0, s17, s6
	s_ashr_i32 s1, s0, 31
	s_lshl_b64 s[0:1], s[0:1], 1
	s_add_u32 s0, s10, s0
	s_addc_u32 s1, s11, s1
	s_lshl_b32 s2, s20, 1
	v_mov_b32_e32 v1, s2
	global_load_ushort v6, v1, s[0:1]
	s_load_dword s3, s[4:5], 0x28
	v_lshlrev_b32_e32 v1, 1, v0
	v_mov_b32_e32 v2, s1
	v_add_co_u32_e32 v1, vcc, s0, v1
	s_waitcnt lgkmcnt(0)
	s_lshr_b32 s3, s3, 16
	s_cmp_lg_u64 s[14:15], 0
	s_cselect_b64 s[0:1], -1, 0
	s_add_u32 s10, s14, s2
	v_cndmask_b32_e64 v7, 0, 1, s[0:1]
	s_mov_b64 s[4:5], 0
	v_mov_b32_e32 v5, 0
	v_addc_co_u32_e32 v2, vcc, 0, v2, vcc
	s_addc_u32 s11, s15, 0
	s_lshl_b32 s14, s19, 1
	v_cmp_ne_u32_e64 s[0:1], 1, v7
	v_mov_b32_e32 v7, v0
	s_waitcnt vmcnt(0)
	v_sub_f16_e32 v6, s3, v6
	s_branch .LBB4_6
.LBB4_4:                                ;   in Loop: Header=BB4_6 Depth=1
	v_cvt_f32_f16_e32 v8, v8
	v_add_f32_e32 v5, v5, v8
	ds_write_b32 v3, v5
.LBB4_5:                                ;   in Loop: Header=BB4_6 Depth=1
	s_or_b64 exec, exec, s[2:3]
	v_add_u32_e32 v7, s19, v7
	v_cmp_le_i32_e32 vcc, s17, v7
	s_or_b64 s[4:5], vcc, s[4:5]
	v_add_co_u32_e32 v1, vcc, s14, v1
	v_addc_co_u32_e32 v2, vcc, 0, v2, vcc
	s_andn2_b64 exec, exec, s[4:5]
	s_cbranch_execz .LBB4_9
.LBB4_6:                                ; =>This Inner Loop Header: Depth=1
	global_load_ushort v8, v[1:2], off
	v_cmp_ne_u32_e32 vcc, s20, v7
	s_waitcnt vmcnt(0)
	v_add_f16_e32 v8, v6, v8
	v_cmp_lt_f16_e64 s[2:3], 0, v8
	s_and_b64 s[24:25], vcc, s[2:3]
	s_and_saveexec_b64 s[2:3], s[24:25]
	s_cbranch_execz .LBB4_5
; %bb.7:                                ;   in Loop: Header=BB4_6 Depth=1
	s_and_b64 vcc, exec, s[0:1]
	s_cbranch_vccnz .LBB4_4
; %bb.8:                                ;   in Loop: Header=BB4_6 Depth=1
	global_load_ushort v9, v4, s[10:11]
	s_waitcnt vmcnt(0)
	v_mul_f16_e32 v8, v8, v9
	s_branch .LBB4_4
.LBB4_9:
	s_or_b64 exec, exec, s[22:23]
	v_cmp_eq_u32_e32 vcc, 0, v0
	s_waitcnt lgkmcnt(0)
	s_barrier
	s_and_saveexec_b64 s[0:1], vcc
	s_cbranch_execz .LBB4_20
; %bb.10:
	s_cmp_eq_u32 s19, 0
	s_cbranch_scc1 .LBB4_15
; %bb.11:
	s_cmp_lt_u32 s19, 8
	s_cbranch_scc1 .LBB4_16
; %bb.12:
	s_and_b32 s2, s19, 0xfff8
	s_mov_b32 s3, 0
	v_mov_b32_e32 v0, 0
	s_mov_b32 s4, 0
.LBB4_13:                               ; =>This Inner Loop Header: Depth=1
	v_mov_b32_e32 v5, s3
	ds_read_b128 v[1:4], v5
	ds_read_b128 v[5:8], v5 offset:16
	s_add_i32 s4, s4, 8
	s_add_i32 s3, s3, 32
	s_cmp_eq_u32 s2, s4
	s_waitcnt lgkmcnt(1)
	v_add_f32_e32 v0, v0, v1
	v_add_f32_e32 v0, v0, v2
	;; [unrolled: 1-line block ×4, first 2 shown]
	s_waitcnt lgkmcnt(0)
	v_add_f32_e32 v0, v0, v5
	v_add_f32_e32 v0, v0, v6
	;; [unrolled: 1-line block ×4, first 2 shown]
	s_cbranch_scc0 .LBB4_13
; %bb.14:
	s_and_b32 s3, s19, 7
	s_cmp_eq_u32 s3, 0
	s_cbranch_scc0 .LBB4_17
	s_branch .LBB4_19
.LBB4_15:
	v_mov_b32_e32 v0, 0
	s_branch .LBB4_19
.LBB4_16:
	s_mov_b32 s2, 0
	v_mov_b32_e32 v0, 0
	s_and_b32 s3, s19, 7
	s_cmp_eq_u32 s3, 0
	s_cbranch_scc1 .LBB4_19
.LBB4_17:
	s_lshl_b32 s2, s2, 2
.LBB4_18:                               ; =>This Inner Loop Header: Depth=1
	v_mov_b32_e32 v1, s2
	ds_read_b32 v1, v1
	s_add_i32 s2, s2, 4
	s_add_i32 s3, s3, -1
	s_cmp_lg_u32 s3, 0
	s_waitcnt lgkmcnt(0)
	v_add_f32_e32 v0, v0, v1
	s_cbranch_scc1 .LBB4_18
.LBB4_19:
	s_and_b32 s4, 1, s18
	s_lshl_b64 s[2:3], s[6:7], 1
	s_add_u32 s2, s8, s2
	s_addc_u32 s3, s9, s3
	s_cmp_eq_u32 s4, 1
	s_cselect_b32 s4, s16, 1
	s_mul_i32 s4, s4, s17
	v_cvt_f32_i32_e32 v1, s4
	v_div_scale_f32 v2, s[4:5], v1, v1, v0
	v_div_scale_f32 v3, vcc, v0, v1, v0
	v_rcp_f32_e32 v4, v2
	v_fma_f32 v5, -v2, v4, 1.0
	v_fmac_f32_e32 v4, v5, v4
	v_mul_f32_e32 v5, v3, v4
	v_fma_f32 v6, -v2, v5, v3
	v_fmac_f32_e32 v5, v6, v4
	v_fma_f32 v2, -v2, v5, v3
	v_div_fmas_f32 v2, v2, v4, v5
	v_div_fixup_f32 v0, v2, v1, v0
	v_cvt_f16_f32_e32 v0, v0
	v_mov_b32_e32 v1, 0
	global_store_short v1, v0, s[2:3]
.LBB4_20:
	s_or_b64 exec, exec, s[0:1]
.LBB4_21:
	s_and_b64 vcc, exec, s[12:13]
	s_cbranch_vccnz .LBB4_24
.LBB4_22:
	s_endpgm
.LBB4_23:
	s_cbranch_execz .LBB4_22
.LBB4_24:
	s_trap 2
	; divergent unreachable
	s_endpgm
	.section	.rodata,"a",@progbits
	.p2align	6, 0x0
	.amdhsa_kernel _ZN2at6native12_GLOBAL__N_130MultiMarginLoss_forward_kernelILi1EN3c104HalfEEEvPT0_PKS5_PKlS8_iibS5_
		.amdhsa_group_segment_fixed_size 512
		.amdhsa_private_segment_fixed_size 0
		.amdhsa_kernarg_size 304
		.amdhsa_user_sgpr_count 6
		.amdhsa_user_sgpr_private_segment_buffer 1
		.amdhsa_user_sgpr_dispatch_ptr 0
		.amdhsa_user_sgpr_queue_ptr 0
		.amdhsa_user_sgpr_kernarg_segment_ptr 1
		.amdhsa_user_sgpr_dispatch_id 0
		.amdhsa_user_sgpr_flat_scratch_init 0
		.amdhsa_user_sgpr_private_segment_size 0
		.amdhsa_uses_dynamic_stack 0
		.amdhsa_system_sgpr_private_segment_wavefront_offset 0
		.amdhsa_system_sgpr_workgroup_id_x 1
		.amdhsa_system_sgpr_workgroup_id_y 0
		.amdhsa_system_sgpr_workgroup_id_z 0
		.amdhsa_system_sgpr_workgroup_info 0
		.amdhsa_system_vgpr_workitem_id 0
		.amdhsa_next_free_vgpr 10
		.amdhsa_next_free_sgpr 26
		.amdhsa_reserve_vcc 1
		.amdhsa_reserve_flat_scratch 0
		.amdhsa_float_round_mode_32 0
		.amdhsa_float_round_mode_16_64 0
		.amdhsa_float_denorm_mode_32 3
		.amdhsa_float_denorm_mode_16_64 3
		.amdhsa_dx10_clamp 1
		.amdhsa_ieee_mode 1
		.amdhsa_fp16_overflow 0
		.amdhsa_exception_fp_ieee_invalid_op 0
		.amdhsa_exception_fp_denorm_src 0
		.amdhsa_exception_fp_ieee_div_zero 0
		.amdhsa_exception_fp_ieee_overflow 0
		.amdhsa_exception_fp_ieee_underflow 0
		.amdhsa_exception_fp_ieee_inexact 0
		.amdhsa_exception_int_div_zero 0
	.end_amdhsa_kernel
	.section	.text._ZN2at6native12_GLOBAL__N_130MultiMarginLoss_forward_kernelILi1EN3c104HalfEEEvPT0_PKS5_PKlS8_iibS5_,"axG",@progbits,_ZN2at6native12_GLOBAL__N_130MultiMarginLoss_forward_kernelILi1EN3c104HalfEEEvPT0_PKS5_PKlS8_iibS5_,comdat
.Lfunc_end4:
	.size	_ZN2at6native12_GLOBAL__N_130MultiMarginLoss_forward_kernelILi1EN3c104HalfEEEvPT0_PKS5_PKlS8_iibS5_, .Lfunc_end4-_ZN2at6native12_GLOBAL__N_130MultiMarginLoss_forward_kernelILi1EN3c104HalfEEEvPT0_PKS5_PKlS8_iibS5_
                                        ; -- End function
	.set _ZN2at6native12_GLOBAL__N_130MultiMarginLoss_forward_kernelILi1EN3c104HalfEEEvPT0_PKS5_PKlS8_iibS5_.num_vgpr, 10
	.set _ZN2at6native12_GLOBAL__N_130MultiMarginLoss_forward_kernelILi1EN3c104HalfEEEvPT0_PKS5_PKlS8_iibS5_.num_agpr, 0
	.set _ZN2at6native12_GLOBAL__N_130MultiMarginLoss_forward_kernelILi1EN3c104HalfEEEvPT0_PKS5_PKlS8_iibS5_.numbered_sgpr, 26
	.set _ZN2at6native12_GLOBAL__N_130MultiMarginLoss_forward_kernelILi1EN3c104HalfEEEvPT0_PKS5_PKlS8_iibS5_.num_named_barrier, 0
	.set _ZN2at6native12_GLOBAL__N_130MultiMarginLoss_forward_kernelILi1EN3c104HalfEEEvPT0_PKS5_PKlS8_iibS5_.private_seg_size, 0
	.set _ZN2at6native12_GLOBAL__N_130MultiMarginLoss_forward_kernelILi1EN3c104HalfEEEvPT0_PKS5_PKlS8_iibS5_.uses_vcc, 1
	.set _ZN2at6native12_GLOBAL__N_130MultiMarginLoss_forward_kernelILi1EN3c104HalfEEEvPT0_PKS5_PKlS8_iibS5_.uses_flat_scratch, 0
	.set _ZN2at6native12_GLOBAL__N_130MultiMarginLoss_forward_kernelILi1EN3c104HalfEEEvPT0_PKS5_PKlS8_iibS5_.has_dyn_sized_stack, 0
	.set _ZN2at6native12_GLOBAL__N_130MultiMarginLoss_forward_kernelILi1EN3c104HalfEEEvPT0_PKS5_PKlS8_iibS5_.has_recursion, 0
	.set _ZN2at6native12_GLOBAL__N_130MultiMarginLoss_forward_kernelILi1EN3c104HalfEEEvPT0_PKS5_PKlS8_iibS5_.has_indirect_call, 0
	.section	.AMDGPU.csdata,"",@progbits
; Kernel info:
; codeLenInByte = 768
; TotalNumSgprs: 30
; NumVgprs: 10
; ScratchSize: 0
; MemoryBound: 0
; FloatMode: 240
; IeeeMode: 1
; LDSByteSize: 512 bytes/workgroup (compile time only)
; SGPRBlocks: 3
; VGPRBlocks: 2
; NumSGPRsForWavesPerEU: 30
; NumVGPRsForWavesPerEU: 10
; Occupancy: 10
; WaveLimiterHint : 1
; COMPUTE_PGM_RSRC2:SCRATCH_EN: 0
; COMPUTE_PGM_RSRC2:USER_SGPR: 6
; COMPUTE_PGM_RSRC2:TRAP_HANDLER: 0
; COMPUTE_PGM_RSRC2:TGID_X_EN: 1
; COMPUTE_PGM_RSRC2:TGID_Y_EN: 0
; COMPUTE_PGM_RSRC2:TGID_Z_EN: 0
; COMPUTE_PGM_RSRC2:TIDIG_COMP_CNT: 0
	.section	.text._ZN2at6native12_GLOBAL__N_130MultiMarginLoss_forward_kernelILi2EN3c104HalfEEEvPT0_PKS5_PKlS8_iibS5_,"axG",@progbits,_ZN2at6native12_GLOBAL__N_130MultiMarginLoss_forward_kernelILi2EN3c104HalfEEEvPT0_PKS5_PKlS8_iibS5_,comdat
	.globl	_ZN2at6native12_GLOBAL__N_130MultiMarginLoss_forward_kernelILi2EN3c104HalfEEEvPT0_PKS5_PKlS8_iibS5_ ; -- Begin function _ZN2at6native12_GLOBAL__N_130MultiMarginLoss_forward_kernelILi2EN3c104HalfEEEvPT0_PKS5_PKlS8_iibS5_
	.p2align	8
	.type	_ZN2at6native12_GLOBAL__N_130MultiMarginLoss_forward_kernelILi2EN3c104HalfEEEvPT0_PKS5_PKlS8_iibS5_,@function
_ZN2at6native12_GLOBAL__N_130MultiMarginLoss_forward_kernelILi2EN3c104HalfEEEvPT0_PKS5_PKlS8_iibS5_: ; @_ZN2at6native12_GLOBAL__N_130MultiMarginLoss_forward_kernelILi2EN3c104HalfEEEvPT0_PKS5_PKlS8_iibS5_
; %bb.0:
	s_load_dwordx8 s[8:15], s[4:5], 0x0
	s_ashr_i32 s7, s6, 31
	s_lshl_b64 s[0:1], s[6:7], 3
	s_waitcnt lgkmcnt(0)
	s_add_u32 s0, s12, s0
	s_addc_u32 s1, s13, s1
	s_load_dwordx2 s[20:21], s[0:1], 0x0
	s_waitcnt lgkmcnt(0)
	s_cmp_lt_i32 s20, 0
	s_cbranch_scc1 .LBB5_23
; %bb.1:
	s_load_dwordx4 s[16:19], s[4:5], 0x20
	s_waitcnt lgkmcnt(0)
	s_cmp_le_i32 s17, s20
	s_cselect_b64 s[0:1], -1, 0
	s_getpc_b64 s[2:3]
	s_add_u32 s2, s2, .str@rel32@lo+4
	s_addc_u32 s3, s3, .str@rel32@hi+12
	s_cmp_eq_u64 s[2:3], 0
	s_cselect_b64 s[2:3], -1, 0
	s_or_b64 s[12:13], s[0:1], s[2:3]
	s_andn2_b64 vcc, exec, s[12:13]
	s_cbranch_vccz .LBB5_21
; %bb.2:
	s_load_dword s0, s[4:5], 0x3c
	v_lshlrev_b32_e32 v3, 2, v0
	v_mov_b32_e32 v4, 0
	v_cmp_gt_u32_e32 vcc, s17, v0
	ds_write_b32 v3, v4
	s_waitcnt lgkmcnt(0)
	s_and_b32 s19, s0, 0xffff
	s_and_saveexec_b64 s[22:23], vcc
	s_cbranch_execz .LBB5_9
; %bb.3:
	s_mul_i32 s0, s17, s6
	s_ashr_i32 s1, s0, 31
	s_lshl_b64 s[0:1], s[0:1], 1
	s_add_u32 s0, s10, s0
	s_addc_u32 s1, s11, s1
	s_lshl_b32 s2, s20, 1
	v_mov_b32_e32 v1, s2
	global_load_ushort v6, v1, s[0:1]
	s_load_dword s3, s[4:5], 0x28
	v_lshlrev_b32_e32 v1, 1, v0
	v_mov_b32_e32 v2, s1
	v_add_co_u32_e32 v1, vcc, s0, v1
	s_waitcnt lgkmcnt(0)
	s_lshr_b32 s3, s3, 16
	s_cmp_lg_u64 s[14:15], 0
	s_cselect_b64 s[0:1], -1, 0
	s_add_u32 s10, s14, s2
	v_cndmask_b32_e64 v7, 0, 1, s[0:1]
	s_mov_b64 s[4:5], 0
	v_mov_b32_e32 v5, 0
	v_addc_co_u32_e32 v2, vcc, 0, v2, vcc
	s_addc_u32 s11, s15, 0
	s_lshl_b32 s14, s19, 1
	v_cmp_ne_u32_e64 s[0:1], 1, v7
	v_mov_b32_e32 v7, v0
	s_waitcnt vmcnt(0)
	v_sub_f16_e32 v6, s3, v6
	s_branch .LBB5_6
.LBB5_4:                                ;   in Loop: Header=BB5_6 Depth=1
	v_cvt_f32_f16_e32 v8, v8
	v_add_f32_e32 v5, v5, v8
	ds_write_b32 v3, v5
.LBB5_5:                                ;   in Loop: Header=BB5_6 Depth=1
	s_or_b64 exec, exec, s[2:3]
	v_add_u32_e32 v7, s19, v7
	v_cmp_le_i32_e32 vcc, s17, v7
	s_or_b64 s[4:5], vcc, s[4:5]
	v_add_co_u32_e32 v1, vcc, s14, v1
	v_addc_co_u32_e32 v2, vcc, 0, v2, vcc
	s_andn2_b64 exec, exec, s[4:5]
	s_cbranch_execz .LBB5_9
.LBB5_6:                                ; =>This Inner Loop Header: Depth=1
	global_load_ushort v8, v[1:2], off
	v_cmp_ne_u32_e32 vcc, s20, v7
	s_waitcnt vmcnt(0)
	v_add_f16_e32 v8, v6, v8
	v_cmp_lt_f16_e64 s[2:3], 0, v8
	s_and_b64 s[24:25], vcc, s[2:3]
	s_and_saveexec_b64 s[2:3], s[24:25]
	s_cbranch_execz .LBB5_5
; %bb.7:                                ;   in Loop: Header=BB5_6 Depth=1
	s_and_b64 vcc, exec, s[0:1]
	v_mul_f16_e32 v8, v8, v8
	s_cbranch_vccnz .LBB5_4
; %bb.8:                                ;   in Loop: Header=BB5_6 Depth=1
	global_load_ushort v9, v4, s[10:11]
	s_waitcnt vmcnt(0)
	v_mul_f16_e32 v8, v8, v9
	s_branch .LBB5_4
.LBB5_9:
	s_or_b64 exec, exec, s[22:23]
	v_cmp_eq_u32_e32 vcc, 0, v0
	s_waitcnt lgkmcnt(0)
	s_barrier
	s_and_saveexec_b64 s[0:1], vcc
	s_cbranch_execz .LBB5_20
; %bb.10:
	s_cmp_eq_u32 s19, 0
	s_cbranch_scc1 .LBB5_15
; %bb.11:
	s_cmp_lt_u32 s19, 8
	s_cbranch_scc1 .LBB5_16
; %bb.12:
	s_and_b32 s2, s19, 0xfff8
	s_mov_b32 s3, 0
	v_mov_b32_e32 v0, 0
	s_mov_b32 s4, 0
.LBB5_13:                               ; =>This Inner Loop Header: Depth=1
	v_mov_b32_e32 v5, s3
	ds_read_b128 v[1:4], v5
	ds_read_b128 v[5:8], v5 offset:16
	s_add_i32 s4, s4, 8
	s_add_i32 s3, s3, 32
	s_cmp_eq_u32 s2, s4
	s_waitcnt lgkmcnt(1)
	v_add_f32_e32 v0, v0, v1
	v_add_f32_e32 v0, v0, v2
	;; [unrolled: 1-line block ×4, first 2 shown]
	s_waitcnt lgkmcnt(0)
	v_add_f32_e32 v0, v0, v5
	v_add_f32_e32 v0, v0, v6
	;; [unrolled: 1-line block ×4, first 2 shown]
	s_cbranch_scc0 .LBB5_13
; %bb.14:
	s_and_b32 s3, s19, 7
	s_cmp_eq_u32 s3, 0
	s_cbranch_scc0 .LBB5_17
	s_branch .LBB5_19
.LBB5_15:
	v_mov_b32_e32 v0, 0
	s_branch .LBB5_19
.LBB5_16:
	s_mov_b32 s2, 0
	v_mov_b32_e32 v0, 0
	s_and_b32 s3, s19, 7
	s_cmp_eq_u32 s3, 0
	s_cbranch_scc1 .LBB5_19
.LBB5_17:
	s_lshl_b32 s2, s2, 2
.LBB5_18:                               ; =>This Inner Loop Header: Depth=1
	v_mov_b32_e32 v1, s2
	ds_read_b32 v1, v1
	s_add_i32 s2, s2, 4
	s_add_i32 s3, s3, -1
	s_cmp_lg_u32 s3, 0
	s_waitcnt lgkmcnt(0)
	v_add_f32_e32 v0, v0, v1
	s_cbranch_scc1 .LBB5_18
.LBB5_19:
	s_and_b32 s4, 1, s18
	s_lshl_b64 s[2:3], s[6:7], 1
	s_add_u32 s2, s8, s2
	s_addc_u32 s3, s9, s3
	s_cmp_eq_u32 s4, 1
	s_cselect_b32 s4, s16, 1
	s_mul_i32 s4, s4, s17
	v_cvt_f32_i32_e32 v1, s4
	v_div_scale_f32 v2, s[4:5], v1, v1, v0
	v_div_scale_f32 v3, vcc, v0, v1, v0
	v_rcp_f32_e32 v4, v2
	v_fma_f32 v5, -v2, v4, 1.0
	v_fmac_f32_e32 v4, v5, v4
	v_mul_f32_e32 v5, v3, v4
	v_fma_f32 v6, -v2, v5, v3
	v_fmac_f32_e32 v5, v6, v4
	v_fma_f32 v2, -v2, v5, v3
	v_div_fmas_f32 v2, v2, v4, v5
	v_div_fixup_f32 v0, v2, v1, v0
	v_cvt_f16_f32_e32 v0, v0
	v_mov_b32_e32 v1, 0
	global_store_short v1, v0, s[2:3]
.LBB5_20:
	s_or_b64 exec, exec, s[0:1]
.LBB5_21:
	s_and_b64 vcc, exec, s[12:13]
	s_cbranch_vccnz .LBB5_24
.LBB5_22:
	s_endpgm
.LBB5_23:
	s_cbranch_execz .LBB5_22
.LBB5_24:
	s_trap 2
	; divergent unreachable
	s_endpgm
	.section	.rodata,"a",@progbits
	.p2align	6, 0x0
	.amdhsa_kernel _ZN2at6native12_GLOBAL__N_130MultiMarginLoss_forward_kernelILi2EN3c104HalfEEEvPT0_PKS5_PKlS8_iibS5_
		.amdhsa_group_segment_fixed_size 512
		.amdhsa_private_segment_fixed_size 0
		.amdhsa_kernarg_size 304
		.amdhsa_user_sgpr_count 6
		.amdhsa_user_sgpr_private_segment_buffer 1
		.amdhsa_user_sgpr_dispatch_ptr 0
		.amdhsa_user_sgpr_queue_ptr 0
		.amdhsa_user_sgpr_kernarg_segment_ptr 1
		.amdhsa_user_sgpr_dispatch_id 0
		.amdhsa_user_sgpr_flat_scratch_init 0
		.amdhsa_user_sgpr_private_segment_size 0
		.amdhsa_uses_dynamic_stack 0
		.amdhsa_system_sgpr_private_segment_wavefront_offset 0
		.amdhsa_system_sgpr_workgroup_id_x 1
		.amdhsa_system_sgpr_workgroup_id_y 0
		.amdhsa_system_sgpr_workgroup_id_z 0
		.amdhsa_system_sgpr_workgroup_info 0
		.amdhsa_system_vgpr_workitem_id 0
		.amdhsa_next_free_vgpr 10
		.amdhsa_next_free_sgpr 26
		.amdhsa_reserve_vcc 1
		.amdhsa_reserve_flat_scratch 0
		.amdhsa_float_round_mode_32 0
		.amdhsa_float_round_mode_16_64 0
		.amdhsa_float_denorm_mode_32 3
		.amdhsa_float_denorm_mode_16_64 3
		.amdhsa_dx10_clamp 1
		.amdhsa_ieee_mode 1
		.amdhsa_fp16_overflow 0
		.amdhsa_exception_fp_ieee_invalid_op 0
		.amdhsa_exception_fp_denorm_src 0
		.amdhsa_exception_fp_ieee_div_zero 0
		.amdhsa_exception_fp_ieee_overflow 0
		.amdhsa_exception_fp_ieee_underflow 0
		.amdhsa_exception_fp_ieee_inexact 0
		.amdhsa_exception_int_div_zero 0
	.end_amdhsa_kernel
	.section	.text._ZN2at6native12_GLOBAL__N_130MultiMarginLoss_forward_kernelILi2EN3c104HalfEEEvPT0_PKS5_PKlS8_iibS5_,"axG",@progbits,_ZN2at6native12_GLOBAL__N_130MultiMarginLoss_forward_kernelILi2EN3c104HalfEEEvPT0_PKS5_PKlS8_iibS5_,comdat
.Lfunc_end5:
	.size	_ZN2at6native12_GLOBAL__N_130MultiMarginLoss_forward_kernelILi2EN3c104HalfEEEvPT0_PKS5_PKlS8_iibS5_, .Lfunc_end5-_ZN2at6native12_GLOBAL__N_130MultiMarginLoss_forward_kernelILi2EN3c104HalfEEEvPT0_PKS5_PKlS8_iibS5_
                                        ; -- End function
	.set _ZN2at6native12_GLOBAL__N_130MultiMarginLoss_forward_kernelILi2EN3c104HalfEEEvPT0_PKS5_PKlS8_iibS5_.num_vgpr, 10
	.set _ZN2at6native12_GLOBAL__N_130MultiMarginLoss_forward_kernelILi2EN3c104HalfEEEvPT0_PKS5_PKlS8_iibS5_.num_agpr, 0
	.set _ZN2at6native12_GLOBAL__N_130MultiMarginLoss_forward_kernelILi2EN3c104HalfEEEvPT0_PKS5_PKlS8_iibS5_.numbered_sgpr, 26
	.set _ZN2at6native12_GLOBAL__N_130MultiMarginLoss_forward_kernelILi2EN3c104HalfEEEvPT0_PKS5_PKlS8_iibS5_.num_named_barrier, 0
	.set _ZN2at6native12_GLOBAL__N_130MultiMarginLoss_forward_kernelILi2EN3c104HalfEEEvPT0_PKS5_PKlS8_iibS5_.private_seg_size, 0
	.set _ZN2at6native12_GLOBAL__N_130MultiMarginLoss_forward_kernelILi2EN3c104HalfEEEvPT0_PKS5_PKlS8_iibS5_.uses_vcc, 1
	.set _ZN2at6native12_GLOBAL__N_130MultiMarginLoss_forward_kernelILi2EN3c104HalfEEEvPT0_PKS5_PKlS8_iibS5_.uses_flat_scratch, 0
	.set _ZN2at6native12_GLOBAL__N_130MultiMarginLoss_forward_kernelILi2EN3c104HalfEEEvPT0_PKS5_PKlS8_iibS5_.has_dyn_sized_stack, 0
	.set _ZN2at6native12_GLOBAL__N_130MultiMarginLoss_forward_kernelILi2EN3c104HalfEEEvPT0_PKS5_PKlS8_iibS5_.has_recursion, 0
	.set _ZN2at6native12_GLOBAL__N_130MultiMarginLoss_forward_kernelILi2EN3c104HalfEEEvPT0_PKS5_PKlS8_iibS5_.has_indirect_call, 0
	.section	.AMDGPU.csdata,"",@progbits
; Kernel info:
; codeLenInByte = 772
; TotalNumSgprs: 30
; NumVgprs: 10
; ScratchSize: 0
; MemoryBound: 0
; FloatMode: 240
; IeeeMode: 1
; LDSByteSize: 512 bytes/workgroup (compile time only)
; SGPRBlocks: 3
; VGPRBlocks: 2
; NumSGPRsForWavesPerEU: 30
; NumVGPRsForWavesPerEU: 10
; Occupancy: 10
; WaveLimiterHint : 1
; COMPUTE_PGM_RSRC2:SCRATCH_EN: 0
; COMPUTE_PGM_RSRC2:USER_SGPR: 6
; COMPUTE_PGM_RSRC2:TRAP_HANDLER: 0
; COMPUTE_PGM_RSRC2:TGID_X_EN: 1
; COMPUTE_PGM_RSRC2:TGID_Y_EN: 0
; COMPUTE_PGM_RSRC2:TGID_Z_EN: 0
; COMPUTE_PGM_RSRC2:TIDIG_COMP_CNT: 0
	.section	.text._ZN2at6native12_GLOBAL__N_130MultiMarginLoss_forward_kernelILi1EN3c108BFloat16EEEvPT0_PKS5_PKlS8_iibS5_,"axG",@progbits,_ZN2at6native12_GLOBAL__N_130MultiMarginLoss_forward_kernelILi1EN3c108BFloat16EEEvPT0_PKS5_PKlS8_iibS5_,comdat
	.globl	_ZN2at6native12_GLOBAL__N_130MultiMarginLoss_forward_kernelILi1EN3c108BFloat16EEEvPT0_PKS5_PKlS8_iibS5_ ; -- Begin function _ZN2at6native12_GLOBAL__N_130MultiMarginLoss_forward_kernelILi1EN3c108BFloat16EEEvPT0_PKS5_PKlS8_iibS5_
	.p2align	8
	.type	_ZN2at6native12_GLOBAL__N_130MultiMarginLoss_forward_kernelILi1EN3c108BFloat16EEEvPT0_PKS5_PKlS8_iibS5_,@function
_ZN2at6native12_GLOBAL__N_130MultiMarginLoss_forward_kernelILi1EN3c108BFloat16EEEvPT0_PKS5_PKlS8_iibS5_: ; @_ZN2at6native12_GLOBAL__N_130MultiMarginLoss_forward_kernelILi1EN3c108BFloat16EEEvPT0_PKS5_PKlS8_iibS5_
; %bb.0:
	s_load_dwordx8 s[8:15], s[4:5], 0x0
	s_ashr_i32 s7, s6, 31
	s_lshl_b64 s[0:1], s[6:7], 3
	s_waitcnt lgkmcnt(0)
	s_add_u32 s0, s12, s0
	s_addc_u32 s1, s13, s1
	s_load_dwordx2 s[12:13], s[0:1], 0x0
	s_waitcnt lgkmcnt(0)
	s_cmp_lt_i32 s12, 0
	s_cbranch_scc1 .LBB6_25
; %bb.1:
	s_load_dwordx4 s[16:19], s[4:5], 0x20
	s_waitcnt lgkmcnt(0)
	s_cmp_le_i32 s17, s12
	s_cselect_b64 s[0:1], -1, 0
	s_getpc_b64 s[2:3]
	s_add_u32 s2, s2, .str@rel32@lo+4
	s_addc_u32 s3, s3, .str@rel32@hi+12
	s_cmp_eq_u64 s[2:3], 0
	s_cselect_b64 s[2:3], -1, 0
	s_or_b64 s[2:3], s[0:1], s[2:3]
	s_andn2_b64 vcc, exec, s[2:3]
	s_cbranch_vccz .LBB6_23
; %bb.2:
	s_load_dword s0, s[4:5], 0x3c
	v_lshlrev_b32_e32 v3, 2, v0
	v_mov_b32_e32 v4, 0
	v_cmp_gt_u32_e32 vcc, s17, v0
	ds_write_b32 v3, v4
	s_waitcnt lgkmcnt(0)
	s_and_b32 s13, s0, 0xffff
	s_and_saveexec_b64 s[20:21], vcc
	s_cbranch_execz .LBB6_11
; %bb.3:
	s_mul_i32 s0, s17, s6
	s_ashr_i32 s1, s0, 31
	s_lshl_b64 s[0:1], s[0:1], 1
	s_add_u32 s0, s10, s0
	s_addc_u32 s1, s11, s1
	s_lshl_b32 s10, s12, 1
	v_mov_b32_e32 v1, s10
	global_load_ushort v7, v1, s[0:1]
	s_load_dword s11, s[4:5], 0x28
	v_lshlrev_b32_e32 v1, 1, v0
	v_mov_b32_e32 v2, s1
	v_add_co_u32_e32 v1, vcc, s0, v1
	s_waitcnt lgkmcnt(0)
	s_and_b32 s22, s11, 0xffff0000
	s_cmp_lg_u64 s[14:15], 0
	s_cselect_b64 s[0:1], -1, 0
	v_cndmask_b32_e64 v8, 0, 1, s[0:1]
	v_cmp_ne_u32_e64 s[0:1], 1, v8
	v_addc_co_u32_e32 v2, vcc, 0, v2, vcc
	v_mov_b32_e32 v5, 0x7fc00000
	s_add_u32 s10, s14, s10
	s_movk_i32 s19, 0x7fff
	s_mov_b64 s[4:5], 0
	v_mov_b32_e32 v6, 0
	s_addc_u32 s11, s15, 0
	s_lshl_b32 s24, s13, 1
	s_waitcnt vmcnt(0)
	v_lshlrev_b32_e32 v7, 16, v7
	v_sub_f32_e32 v7, s22, v7
	v_bfe_u32 v8, v7, 16, 1
	v_add_u32_e32 v8, v7, v8
	v_add_u32_e32 v8, 0x7fff, v8
	v_and_b32_e32 v8, 0xffff0000, v8
	v_cmp_o_f32_e32 vcc, v7, v7
	v_cndmask_b32_e32 v7, v5, v8, vcc
	v_mov_b32_e32 v8, v0
	s_branch .LBB6_7
.LBB6_4:                                ;   in Loop: Header=BB6_7 Depth=1
	v_add_f32_e32 v6, v6, v9
	ds_write_b32 v3, v6
.LBB6_5:                                ;   in Loop: Header=BB6_7 Depth=1
	s_or_b64 exec, exec, s[22:23]
.LBB6_6:                                ;   in Loop: Header=BB6_7 Depth=1
	s_or_b64 exec, exec, s[14:15]
	v_add_u32_e32 v8, s13, v8
	v_cmp_le_i32_e32 vcc, s17, v8
	s_or_b64 s[4:5], vcc, s[4:5]
	v_add_co_u32_e32 v1, vcc, s24, v1
	v_addc_co_u32_e32 v2, vcc, 0, v2, vcc
	s_andn2_b64 exec, exec, s[4:5]
	s_cbranch_execz .LBB6_11
.LBB6_7:                                ; =>This Inner Loop Header: Depth=1
	v_cmp_ne_u32_e32 vcc, s12, v8
	s_and_saveexec_b64 s[14:15], vcc
	s_cbranch_execz .LBB6_6
; %bb.8:                                ;   in Loop: Header=BB6_7 Depth=1
	global_load_ushort v9, v[1:2], off
	s_waitcnt vmcnt(0)
	v_lshlrev_b32_e32 v9, 16, v9
	v_add_f32_e32 v9, v7, v9
	v_bfe_u32 v10, v9, 16, 1
	v_add3_u32 v10, v9, v10, s19
	v_and_b32_e32 v10, 0xffff0000, v10
	v_cmp_o_f32_e32 vcc, v9, v9
	v_cndmask_b32_e32 v9, v5, v10, vcc
	v_cmp_lt_f32_e32 vcc, 0, v9
	s_and_saveexec_b64 s[22:23], vcc
	s_cbranch_execz .LBB6_5
; %bb.9:                                ;   in Loop: Header=BB6_7 Depth=1
	s_and_b64 vcc, exec, s[0:1]
	s_cbranch_vccnz .LBB6_4
; %bb.10:                               ;   in Loop: Header=BB6_7 Depth=1
	global_load_ushort v10, v4, s[10:11]
	s_waitcnt vmcnt(0)
	v_lshlrev_b32_e32 v10, 16, v10
	v_mul_f32_e32 v9, v9, v10
	v_bfe_u32 v10, v9, 16, 1
	v_add3_u32 v10, v9, v10, s19
	v_and_b32_e32 v10, 0xffff0000, v10
	v_cmp_o_f32_e32 vcc, v9, v9
	v_cndmask_b32_e32 v9, v5, v10, vcc
	s_branch .LBB6_4
.LBB6_11:
	s_or_b64 exec, exec, s[20:21]
	v_cmp_eq_u32_e32 vcc, 0, v0
	s_waitcnt lgkmcnt(0)
	s_barrier
	s_and_saveexec_b64 s[0:1], vcc
	s_cbranch_execz .LBB6_22
; %bb.12:
	s_cmp_eq_u32 s13, 0
	s_cbranch_scc1 .LBB6_17
; %bb.13:
	s_cmp_lt_u32 s13, 8
	s_cbranch_scc1 .LBB6_18
; %bb.14:
	s_and_b32 s4, s13, 0xfff8
	s_mov_b32 s5, 0
	v_mov_b32_e32 v0, 0
	s_mov_b32 s10, 0
.LBB6_15:                               ; =>This Inner Loop Header: Depth=1
	v_mov_b32_e32 v5, s5
	ds_read_b128 v[1:4], v5
	ds_read_b128 v[5:8], v5 offset:16
	s_add_i32 s10, s10, 8
	s_add_i32 s5, s5, 32
	s_cmp_eq_u32 s4, s10
	s_waitcnt lgkmcnt(1)
	v_add_f32_e32 v0, v0, v1
	v_add_f32_e32 v0, v0, v2
	;; [unrolled: 1-line block ×4, first 2 shown]
	s_waitcnt lgkmcnt(0)
	v_add_f32_e32 v0, v0, v5
	v_add_f32_e32 v0, v0, v6
	;; [unrolled: 1-line block ×4, first 2 shown]
	s_cbranch_scc0 .LBB6_15
; %bb.16:
	s_and_b32 s5, s13, 7
	s_cmp_eq_u32 s5, 0
	s_cbranch_scc0 .LBB6_19
	s_branch .LBB6_21
.LBB6_17:
	v_mov_b32_e32 v0, 0
	s_branch .LBB6_21
.LBB6_18:
	s_mov_b32 s4, 0
	v_mov_b32_e32 v0, 0
	s_and_b32 s5, s13, 7
	s_cmp_eq_u32 s5, 0
	s_cbranch_scc1 .LBB6_21
.LBB6_19:
	s_lshl_b32 s4, s4, 2
.LBB6_20:                               ; =>This Inner Loop Header: Depth=1
	v_mov_b32_e32 v1, s4
	ds_read_b32 v1, v1
	s_add_i32 s4, s4, 4
	s_add_i32 s5, s5, -1
	s_cmp_lg_u32 s5, 0
	s_waitcnt lgkmcnt(0)
	v_add_f32_e32 v0, v0, v1
	s_cbranch_scc1 .LBB6_20
.LBB6_21:
	s_and_b32 s10, 1, s18
	s_lshl_b64 s[4:5], s[6:7], 1
	s_add_u32 s4, s8, s4
	s_addc_u32 s5, s9, s5
	s_cmp_eq_u32 s10, 1
	s_cselect_b32 s6, s16, 1
	s_mul_i32 s6, s6, s17
	v_cvt_f32_i32_e32 v1, s6
	v_div_scale_f32 v2, s[6:7], v1, v1, v0
	v_div_scale_f32 v3, vcc, v0, v1, v0
	v_rcp_f32_e32 v4, v2
	v_fma_f32 v5, -v2, v4, 1.0
	v_fmac_f32_e32 v4, v5, v4
	v_mul_f32_e32 v5, v3, v4
	v_fma_f32 v6, -v2, v5, v3
	v_fmac_f32_e32 v5, v6, v4
	v_fma_f32 v2, -v2, v5, v3
	v_div_fmas_f32 v2, v2, v4, v5
	v_mov_b32_e32 v4, 0x7fc0
	v_mov_b32_e32 v3, 0
	v_div_fixup_f32 v0, v2, v1, v0
	v_bfe_u32 v1, v0, 16, 1
	v_cmp_o_f32_e32 vcc, v0, v0
	v_add_u32_e32 v0, v0, v1
	v_add_u32_e32 v0, 0x7fff, v0
	v_cndmask_b32_sdwa v0, v4, v0, vcc dst_sel:DWORD dst_unused:UNUSED_PAD src0_sel:DWORD src1_sel:WORD_1
	global_store_short v3, v0, s[4:5]
.LBB6_22:
	s_or_b64 exec, exec, s[0:1]
.LBB6_23:
	s_and_b64 vcc, exec, s[2:3]
	s_cbranch_vccnz .LBB6_26
.LBB6_24:
	s_endpgm
.LBB6_25:
	s_cbranch_execz .LBB6_24
.LBB6_26:
	s_trap 2
	; divergent unreachable
	s_endpgm
	.section	.rodata,"a",@progbits
	.p2align	6, 0x0
	.amdhsa_kernel _ZN2at6native12_GLOBAL__N_130MultiMarginLoss_forward_kernelILi1EN3c108BFloat16EEEvPT0_PKS5_PKlS8_iibS5_
		.amdhsa_group_segment_fixed_size 512
		.amdhsa_private_segment_fixed_size 0
		.amdhsa_kernarg_size 304
		.amdhsa_user_sgpr_count 6
		.amdhsa_user_sgpr_private_segment_buffer 1
		.amdhsa_user_sgpr_dispatch_ptr 0
		.amdhsa_user_sgpr_queue_ptr 0
		.amdhsa_user_sgpr_kernarg_segment_ptr 1
		.amdhsa_user_sgpr_dispatch_id 0
		.amdhsa_user_sgpr_flat_scratch_init 0
		.amdhsa_user_sgpr_private_segment_size 0
		.amdhsa_uses_dynamic_stack 0
		.amdhsa_system_sgpr_private_segment_wavefront_offset 0
		.amdhsa_system_sgpr_workgroup_id_x 1
		.amdhsa_system_sgpr_workgroup_id_y 0
		.amdhsa_system_sgpr_workgroup_id_z 0
		.amdhsa_system_sgpr_workgroup_info 0
		.amdhsa_system_vgpr_workitem_id 0
		.amdhsa_next_free_vgpr 11
		.amdhsa_next_free_sgpr 25
		.amdhsa_reserve_vcc 1
		.amdhsa_reserve_flat_scratch 0
		.amdhsa_float_round_mode_32 0
		.amdhsa_float_round_mode_16_64 0
		.amdhsa_float_denorm_mode_32 3
		.amdhsa_float_denorm_mode_16_64 3
		.amdhsa_dx10_clamp 1
		.amdhsa_ieee_mode 1
		.amdhsa_fp16_overflow 0
		.amdhsa_exception_fp_ieee_invalid_op 0
		.amdhsa_exception_fp_denorm_src 0
		.amdhsa_exception_fp_ieee_div_zero 0
		.amdhsa_exception_fp_ieee_overflow 0
		.amdhsa_exception_fp_ieee_underflow 0
		.amdhsa_exception_fp_ieee_inexact 0
		.amdhsa_exception_int_div_zero 0
	.end_amdhsa_kernel
	.section	.text._ZN2at6native12_GLOBAL__N_130MultiMarginLoss_forward_kernelILi1EN3c108BFloat16EEEvPT0_PKS5_PKlS8_iibS5_,"axG",@progbits,_ZN2at6native12_GLOBAL__N_130MultiMarginLoss_forward_kernelILi1EN3c108BFloat16EEEvPT0_PKS5_PKlS8_iibS5_,comdat
.Lfunc_end6:
	.size	_ZN2at6native12_GLOBAL__N_130MultiMarginLoss_forward_kernelILi1EN3c108BFloat16EEEvPT0_PKS5_PKlS8_iibS5_, .Lfunc_end6-_ZN2at6native12_GLOBAL__N_130MultiMarginLoss_forward_kernelILi1EN3c108BFloat16EEEvPT0_PKS5_PKlS8_iibS5_
                                        ; -- End function
	.set _ZN2at6native12_GLOBAL__N_130MultiMarginLoss_forward_kernelILi1EN3c108BFloat16EEEvPT0_PKS5_PKlS8_iibS5_.num_vgpr, 11
	.set _ZN2at6native12_GLOBAL__N_130MultiMarginLoss_forward_kernelILi1EN3c108BFloat16EEEvPT0_PKS5_PKlS8_iibS5_.num_agpr, 0
	.set _ZN2at6native12_GLOBAL__N_130MultiMarginLoss_forward_kernelILi1EN3c108BFloat16EEEvPT0_PKS5_PKlS8_iibS5_.numbered_sgpr, 25
	.set _ZN2at6native12_GLOBAL__N_130MultiMarginLoss_forward_kernelILi1EN3c108BFloat16EEEvPT0_PKS5_PKlS8_iibS5_.num_named_barrier, 0
	.set _ZN2at6native12_GLOBAL__N_130MultiMarginLoss_forward_kernelILi1EN3c108BFloat16EEEvPT0_PKS5_PKlS8_iibS5_.private_seg_size, 0
	.set _ZN2at6native12_GLOBAL__N_130MultiMarginLoss_forward_kernelILi1EN3c108BFloat16EEEvPT0_PKS5_PKlS8_iibS5_.uses_vcc, 1
	.set _ZN2at6native12_GLOBAL__N_130MultiMarginLoss_forward_kernelILi1EN3c108BFloat16EEEvPT0_PKS5_PKlS8_iibS5_.uses_flat_scratch, 0
	.set _ZN2at6native12_GLOBAL__N_130MultiMarginLoss_forward_kernelILi1EN3c108BFloat16EEEvPT0_PKS5_PKlS8_iibS5_.has_dyn_sized_stack, 0
	.set _ZN2at6native12_GLOBAL__N_130MultiMarginLoss_forward_kernelILi1EN3c108BFloat16EEEvPT0_PKS5_PKlS8_iibS5_.has_recursion, 0
	.set _ZN2at6native12_GLOBAL__N_130MultiMarginLoss_forward_kernelILi1EN3c108BFloat16EEEvPT0_PKS5_PKlS8_iibS5_.has_indirect_call, 0
	.section	.AMDGPU.csdata,"",@progbits
; Kernel info:
; codeLenInByte = 932
; TotalNumSgprs: 29
; NumVgprs: 11
; ScratchSize: 0
; MemoryBound: 0
; FloatMode: 240
; IeeeMode: 1
; LDSByteSize: 512 bytes/workgroup (compile time only)
; SGPRBlocks: 3
; VGPRBlocks: 2
; NumSGPRsForWavesPerEU: 29
; NumVGPRsForWavesPerEU: 11
; Occupancy: 10
; WaveLimiterHint : 1
; COMPUTE_PGM_RSRC2:SCRATCH_EN: 0
; COMPUTE_PGM_RSRC2:USER_SGPR: 6
; COMPUTE_PGM_RSRC2:TRAP_HANDLER: 0
; COMPUTE_PGM_RSRC2:TGID_X_EN: 1
; COMPUTE_PGM_RSRC2:TGID_Y_EN: 0
; COMPUTE_PGM_RSRC2:TGID_Z_EN: 0
; COMPUTE_PGM_RSRC2:TIDIG_COMP_CNT: 0
	.section	.text._ZN2at6native12_GLOBAL__N_130MultiMarginLoss_forward_kernelILi2EN3c108BFloat16EEEvPT0_PKS5_PKlS8_iibS5_,"axG",@progbits,_ZN2at6native12_GLOBAL__N_130MultiMarginLoss_forward_kernelILi2EN3c108BFloat16EEEvPT0_PKS5_PKlS8_iibS5_,comdat
	.globl	_ZN2at6native12_GLOBAL__N_130MultiMarginLoss_forward_kernelILi2EN3c108BFloat16EEEvPT0_PKS5_PKlS8_iibS5_ ; -- Begin function _ZN2at6native12_GLOBAL__N_130MultiMarginLoss_forward_kernelILi2EN3c108BFloat16EEEvPT0_PKS5_PKlS8_iibS5_
	.p2align	8
	.type	_ZN2at6native12_GLOBAL__N_130MultiMarginLoss_forward_kernelILi2EN3c108BFloat16EEEvPT0_PKS5_PKlS8_iibS5_,@function
_ZN2at6native12_GLOBAL__N_130MultiMarginLoss_forward_kernelILi2EN3c108BFloat16EEEvPT0_PKS5_PKlS8_iibS5_: ; @_ZN2at6native12_GLOBAL__N_130MultiMarginLoss_forward_kernelILi2EN3c108BFloat16EEEvPT0_PKS5_PKlS8_iibS5_
; %bb.0:
	s_load_dwordx8 s[8:15], s[4:5], 0x0
	s_ashr_i32 s7, s6, 31
	s_lshl_b64 s[0:1], s[6:7], 3
	s_waitcnt lgkmcnt(0)
	s_add_u32 s0, s12, s0
	s_addc_u32 s1, s13, s1
	s_load_dwordx2 s[12:13], s[0:1], 0x0
	s_waitcnt lgkmcnt(0)
	s_cmp_lt_i32 s12, 0
	s_cbranch_scc1 .LBB7_25
; %bb.1:
	s_load_dwordx4 s[16:19], s[4:5], 0x20
	s_waitcnt lgkmcnt(0)
	s_cmp_le_i32 s17, s12
	s_cselect_b64 s[0:1], -1, 0
	s_getpc_b64 s[2:3]
	s_add_u32 s2, s2, .str@rel32@lo+4
	s_addc_u32 s3, s3, .str@rel32@hi+12
	s_cmp_eq_u64 s[2:3], 0
	s_cselect_b64 s[2:3], -1, 0
	s_or_b64 s[2:3], s[0:1], s[2:3]
	s_andn2_b64 vcc, exec, s[2:3]
	s_cbranch_vccz .LBB7_23
; %bb.2:
	s_load_dword s0, s[4:5], 0x3c
	v_lshlrev_b32_e32 v3, 2, v0
	v_mov_b32_e32 v4, 0
	v_cmp_gt_u32_e32 vcc, s17, v0
	ds_write_b32 v3, v4
	s_waitcnt lgkmcnt(0)
	s_and_b32 s13, s0, 0xffff
	s_and_saveexec_b64 s[20:21], vcc
	s_cbranch_execz .LBB7_11
; %bb.3:
	s_mul_i32 s0, s17, s6
	s_ashr_i32 s1, s0, 31
	s_lshl_b64 s[0:1], s[0:1], 1
	s_add_u32 s0, s10, s0
	s_addc_u32 s1, s11, s1
	s_lshl_b32 s10, s12, 1
	v_mov_b32_e32 v1, s10
	global_load_ushort v7, v1, s[0:1]
	s_load_dword s11, s[4:5], 0x28
	v_lshlrev_b32_e32 v1, 1, v0
	v_mov_b32_e32 v2, s1
	v_add_co_u32_e32 v1, vcc, s0, v1
	s_waitcnt lgkmcnt(0)
	s_and_b32 s22, s11, 0xffff0000
	s_cmp_lg_u64 s[14:15], 0
	s_cselect_b64 s[0:1], -1, 0
	v_cndmask_b32_e64 v8, 0, 1, s[0:1]
	v_cmp_ne_u32_e64 s[0:1], 1, v8
	v_addc_co_u32_e32 v2, vcc, 0, v2, vcc
	v_mov_b32_e32 v5, 0x7fc00000
	s_add_u32 s10, s14, s10
	s_movk_i32 s19, 0x7fff
	s_mov_b64 s[4:5], 0
	v_mov_b32_e32 v6, 0
	s_addc_u32 s11, s15, 0
	s_lshl_b32 s24, s13, 1
	s_waitcnt vmcnt(0)
	v_lshlrev_b32_e32 v7, 16, v7
	v_sub_f32_e32 v7, s22, v7
	v_bfe_u32 v8, v7, 16, 1
	v_add_u32_e32 v8, v7, v8
	v_add_u32_e32 v8, 0x7fff, v8
	v_and_b32_e32 v8, 0xffff0000, v8
	v_cmp_o_f32_e32 vcc, v7, v7
	v_cndmask_b32_e32 v7, v5, v8, vcc
	v_mov_b32_e32 v8, v0
	s_branch .LBB7_7
.LBB7_4:                                ;   in Loop: Header=BB7_7 Depth=1
	v_add_f32_e32 v6, v6, v9
	ds_write_b32 v3, v6
.LBB7_5:                                ;   in Loop: Header=BB7_7 Depth=1
	s_or_b64 exec, exec, s[22:23]
.LBB7_6:                                ;   in Loop: Header=BB7_7 Depth=1
	s_or_b64 exec, exec, s[14:15]
	v_add_u32_e32 v8, s13, v8
	v_cmp_le_i32_e32 vcc, s17, v8
	s_or_b64 s[4:5], vcc, s[4:5]
	v_add_co_u32_e32 v1, vcc, s24, v1
	v_addc_co_u32_e32 v2, vcc, 0, v2, vcc
	s_andn2_b64 exec, exec, s[4:5]
	s_cbranch_execz .LBB7_11
.LBB7_7:                                ; =>This Inner Loop Header: Depth=1
	v_cmp_ne_u32_e32 vcc, s12, v8
	s_and_saveexec_b64 s[14:15], vcc
	s_cbranch_execz .LBB7_6
; %bb.8:                                ;   in Loop: Header=BB7_7 Depth=1
	global_load_ushort v9, v[1:2], off
	s_waitcnt vmcnt(0)
	v_lshlrev_b32_e32 v9, 16, v9
	v_add_f32_e32 v9, v7, v9
	v_bfe_u32 v10, v9, 16, 1
	v_add3_u32 v10, v9, v10, s19
	v_and_b32_e32 v10, 0xffff0000, v10
	v_cmp_o_f32_e32 vcc, v9, v9
	v_cndmask_b32_e32 v9, v5, v10, vcc
	v_cmp_lt_f32_e32 vcc, 0, v9
	s_and_saveexec_b64 s[22:23], vcc
	s_cbranch_execz .LBB7_5
; %bb.9:                                ;   in Loop: Header=BB7_7 Depth=1
	v_mul_f32_e32 v9, v9, v9
	v_bfe_u32 v10, v9, 16, 1
	v_add3_u32 v9, v9, v10, s19
	s_and_b64 vcc, exec, s[0:1]
	v_and_b32_e32 v9, 0xffff0000, v9
	s_cbranch_vccnz .LBB7_4
; %bb.10:                               ;   in Loop: Header=BB7_7 Depth=1
	global_load_ushort v10, v4, s[10:11]
	s_waitcnt vmcnt(0)
	v_lshlrev_b32_e32 v10, 16, v10
	v_mul_f32_e32 v9, v9, v10
	v_bfe_u32 v10, v9, 16, 1
	v_add3_u32 v10, v9, v10, s19
	v_and_b32_e32 v10, 0xffff0000, v10
	v_cmp_o_f32_e32 vcc, v9, v9
	v_cndmask_b32_e32 v9, v5, v10, vcc
	s_branch .LBB7_4
.LBB7_11:
	s_or_b64 exec, exec, s[20:21]
	v_cmp_eq_u32_e32 vcc, 0, v0
	s_waitcnt lgkmcnt(0)
	s_barrier
	s_and_saveexec_b64 s[0:1], vcc
	s_cbranch_execz .LBB7_22
; %bb.12:
	s_cmp_eq_u32 s13, 0
	s_cbranch_scc1 .LBB7_17
; %bb.13:
	s_cmp_lt_u32 s13, 8
	s_cbranch_scc1 .LBB7_18
; %bb.14:
	s_and_b32 s4, s13, 0xfff8
	s_mov_b32 s5, 0
	v_mov_b32_e32 v0, 0
	s_mov_b32 s10, 0
.LBB7_15:                               ; =>This Inner Loop Header: Depth=1
	v_mov_b32_e32 v5, s5
	ds_read_b128 v[1:4], v5
	ds_read_b128 v[5:8], v5 offset:16
	s_add_i32 s10, s10, 8
	s_add_i32 s5, s5, 32
	s_cmp_eq_u32 s4, s10
	s_waitcnt lgkmcnt(1)
	v_add_f32_e32 v0, v0, v1
	v_add_f32_e32 v0, v0, v2
	;; [unrolled: 1-line block ×4, first 2 shown]
	s_waitcnt lgkmcnt(0)
	v_add_f32_e32 v0, v0, v5
	v_add_f32_e32 v0, v0, v6
	v_add_f32_e32 v0, v0, v7
	v_add_f32_e32 v0, v0, v8
	s_cbranch_scc0 .LBB7_15
; %bb.16:
	s_and_b32 s5, s13, 7
	s_cmp_eq_u32 s5, 0
	s_cbranch_scc0 .LBB7_19
	s_branch .LBB7_21
.LBB7_17:
	v_mov_b32_e32 v0, 0
	s_branch .LBB7_21
.LBB7_18:
	s_mov_b32 s4, 0
	v_mov_b32_e32 v0, 0
	s_and_b32 s5, s13, 7
	s_cmp_eq_u32 s5, 0
	s_cbranch_scc1 .LBB7_21
.LBB7_19:
	s_lshl_b32 s4, s4, 2
.LBB7_20:                               ; =>This Inner Loop Header: Depth=1
	v_mov_b32_e32 v1, s4
	ds_read_b32 v1, v1
	s_add_i32 s4, s4, 4
	s_add_i32 s5, s5, -1
	s_cmp_lg_u32 s5, 0
	s_waitcnt lgkmcnt(0)
	v_add_f32_e32 v0, v0, v1
	s_cbranch_scc1 .LBB7_20
.LBB7_21:
	s_and_b32 s10, 1, s18
	s_lshl_b64 s[4:5], s[6:7], 1
	s_add_u32 s4, s8, s4
	s_addc_u32 s5, s9, s5
	s_cmp_eq_u32 s10, 1
	s_cselect_b32 s6, s16, 1
	s_mul_i32 s6, s6, s17
	v_cvt_f32_i32_e32 v1, s6
	v_div_scale_f32 v2, s[6:7], v1, v1, v0
	v_div_scale_f32 v3, vcc, v0, v1, v0
	v_rcp_f32_e32 v4, v2
	v_fma_f32 v5, -v2, v4, 1.0
	v_fmac_f32_e32 v4, v5, v4
	v_mul_f32_e32 v5, v3, v4
	v_fma_f32 v6, -v2, v5, v3
	v_fmac_f32_e32 v5, v6, v4
	v_fma_f32 v2, -v2, v5, v3
	v_div_fmas_f32 v2, v2, v4, v5
	v_mov_b32_e32 v4, 0x7fc0
	v_mov_b32_e32 v3, 0
	v_div_fixup_f32 v0, v2, v1, v0
	v_bfe_u32 v1, v0, 16, 1
	v_cmp_o_f32_e32 vcc, v0, v0
	v_add_u32_e32 v0, v0, v1
	v_add_u32_e32 v0, 0x7fff, v0
	v_cndmask_b32_sdwa v0, v4, v0, vcc dst_sel:DWORD dst_unused:UNUSED_PAD src0_sel:DWORD src1_sel:WORD_1
	global_store_short v3, v0, s[4:5]
.LBB7_22:
	s_or_b64 exec, exec, s[0:1]
.LBB7_23:
	s_and_b64 vcc, exec, s[2:3]
	s_cbranch_vccnz .LBB7_26
.LBB7_24:
	s_endpgm
.LBB7_25:
	s_cbranch_execz .LBB7_24
.LBB7_26:
	s_trap 2
	; divergent unreachable
	s_endpgm
	.section	.rodata,"a",@progbits
	.p2align	6, 0x0
	.amdhsa_kernel _ZN2at6native12_GLOBAL__N_130MultiMarginLoss_forward_kernelILi2EN3c108BFloat16EEEvPT0_PKS5_PKlS8_iibS5_
		.amdhsa_group_segment_fixed_size 512
		.amdhsa_private_segment_fixed_size 0
		.amdhsa_kernarg_size 304
		.amdhsa_user_sgpr_count 6
		.amdhsa_user_sgpr_private_segment_buffer 1
		.amdhsa_user_sgpr_dispatch_ptr 0
		.amdhsa_user_sgpr_queue_ptr 0
		.amdhsa_user_sgpr_kernarg_segment_ptr 1
		.amdhsa_user_sgpr_dispatch_id 0
		.amdhsa_user_sgpr_flat_scratch_init 0
		.amdhsa_user_sgpr_private_segment_size 0
		.amdhsa_uses_dynamic_stack 0
		.amdhsa_system_sgpr_private_segment_wavefront_offset 0
		.amdhsa_system_sgpr_workgroup_id_x 1
		.amdhsa_system_sgpr_workgroup_id_y 0
		.amdhsa_system_sgpr_workgroup_id_z 0
		.amdhsa_system_sgpr_workgroup_info 0
		.amdhsa_system_vgpr_workitem_id 0
		.amdhsa_next_free_vgpr 11
		.amdhsa_next_free_sgpr 25
		.amdhsa_reserve_vcc 1
		.amdhsa_reserve_flat_scratch 0
		.amdhsa_float_round_mode_32 0
		.amdhsa_float_round_mode_16_64 0
		.amdhsa_float_denorm_mode_32 3
		.amdhsa_float_denorm_mode_16_64 3
		.amdhsa_dx10_clamp 1
		.amdhsa_ieee_mode 1
		.amdhsa_fp16_overflow 0
		.amdhsa_exception_fp_ieee_invalid_op 0
		.amdhsa_exception_fp_denorm_src 0
		.amdhsa_exception_fp_ieee_div_zero 0
		.amdhsa_exception_fp_ieee_overflow 0
		.amdhsa_exception_fp_ieee_underflow 0
		.amdhsa_exception_fp_ieee_inexact 0
		.amdhsa_exception_int_div_zero 0
	.end_amdhsa_kernel
	.section	.text._ZN2at6native12_GLOBAL__N_130MultiMarginLoss_forward_kernelILi2EN3c108BFloat16EEEvPT0_PKS5_PKlS8_iibS5_,"axG",@progbits,_ZN2at6native12_GLOBAL__N_130MultiMarginLoss_forward_kernelILi2EN3c108BFloat16EEEvPT0_PKS5_PKlS8_iibS5_,comdat
.Lfunc_end7:
	.size	_ZN2at6native12_GLOBAL__N_130MultiMarginLoss_forward_kernelILi2EN3c108BFloat16EEEvPT0_PKS5_PKlS8_iibS5_, .Lfunc_end7-_ZN2at6native12_GLOBAL__N_130MultiMarginLoss_forward_kernelILi2EN3c108BFloat16EEEvPT0_PKS5_PKlS8_iibS5_
                                        ; -- End function
	.set _ZN2at6native12_GLOBAL__N_130MultiMarginLoss_forward_kernelILi2EN3c108BFloat16EEEvPT0_PKS5_PKlS8_iibS5_.num_vgpr, 11
	.set _ZN2at6native12_GLOBAL__N_130MultiMarginLoss_forward_kernelILi2EN3c108BFloat16EEEvPT0_PKS5_PKlS8_iibS5_.num_agpr, 0
	.set _ZN2at6native12_GLOBAL__N_130MultiMarginLoss_forward_kernelILi2EN3c108BFloat16EEEvPT0_PKS5_PKlS8_iibS5_.numbered_sgpr, 25
	.set _ZN2at6native12_GLOBAL__N_130MultiMarginLoss_forward_kernelILi2EN3c108BFloat16EEEvPT0_PKS5_PKlS8_iibS5_.num_named_barrier, 0
	.set _ZN2at6native12_GLOBAL__N_130MultiMarginLoss_forward_kernelILi2EN3c108BFloat16EEEvPT0_PKS5_PKlS8_iibS5_.private_seg_size, 0
	.set _ZN2at6native12_GLOBAL__N_130MultiMarginLoss_forward_kernelILi2EN3c108BFloat16EEEvPT0_PKS5_PKlS8_iibS5_.uses_vcc, 1
	.set _ZN2at6native12_GLOBAL__N_130MultiMarginLoss_forward_kernelILi2EN3c108BFloat16EEEvPT0_PKS5_PKlS8_iibS5_.uses_flat_scratch, 0
	.set _ZN2at6native12_GLOBAL__N_130MultiMarginLoss_forward_kernelILi2EN3c108BFloat16EEEvPT0_PKS5_PKlS8_iibS5_.has_dyn_sized_stack, 0
	.set _ZN2at6native12_GLOBAL__N_130MultiMarginLoss_forward_kernelILi2EN3c108BFloat16EEEvPT0_PKS5_PKlS8_iibS5_.has_recursion, 0
	.set _ZN2at6native12_GLOBAL__N_130MultiMarginLoss_forward_kernelILi2EN3c108BFloat16EEEvPT0_PKS5_PKlS8_iibS5_.has_indirect_call, 0
	.section	.AMDGPU.csdata,"",@progbits
; Kernel info:
; codeLenInByte = 960
; TotalNumSgprs: 29
; NumVgprs: 11
; ScratchSize: 0
; MemoryBound: 0
; FloatMode: 240
; IeeeMode: 1
; LDSByteSize: 512 bytes/workgroup (compile time only)
; SGPRBlocks: 3
; VGPRBlocks: 2
; NumSGPRsForWavesPerEU: 29
; NumVGPRsForWavesPerEU: 11
; Occupancy: 10
; WaveLimiterHint : 1
; COMPUTE_PGM_RSRC2:SCRATCH_EN: 0
; COMPUTE_PGM_RSRC2:USER_SGPR: 6
; COMPUTE_PGM_RSRC2:TRAP_HANDLER: 0
; COMPUTE_PGM_RSRC2:TGID_X_EN: 1
; COMPUTE_PGM_RSRC2:TGID_Y_EN: 0
; COMPUTE_PGM_RSRC2:TGID_Z_EN: 0
; COMPUTE_PGM_RSRC2:TIDIG_COMP_CNT: 0
	.section	.text._ZN2at6native12_GLOBAL__N_131MultiMarginLoss_backward_kernelILi1EdEEvPT0_PKS3_S6_PKlS6_iibS3_b,"axG",@progbits,_ZN2at6native12_GLOBAL__N_131MultiMarginLoss_backward_kernelILi1EdEEvPT0_PKS3_S6_PKlS6_iibS3_b,comdat
	.globl	_ZN2at6native12_GLOBAL__N_131MultiMarginLoss_backward_kernelILi1EdEEvPT0_PKS3_S6_PKlS6_iibS3_b ; -- Begin function _ZN2at6native12_GLOBAL__N_131MultiMarginLoss_backward_kernelILi1EdEEvPT0_PKS3_S6_PKlS6_iibS3_b
	.p2align	8
	.type	_ZN2at6native12_GLOBAL__N_131MultiMarginLoss_backward_kernelILi1EdEEvPT0_PKS3_S6_PKlS6_iibS3_b,@function
_ZN2at6native12_GLOBAL__N_131MultiMarginLoss_backward_kernelILi1EdEEvPT0_PKS3_S6_PKlS6_iibS3_b: ; @_ZN2at6native12_GLOBAL__N_131MultiMarginLoss_backward_kernelILi1EdEEvPT0_PKS3_S6_PKlS6_iibS3_b
; %bb.0:
	s_load_dword s0, s[4:5], 0x40
	s_load_dwordx4 s[16:19], s[4:5], 0x28
	s_load_dwordx8 s[8:15], s[4:5], 0x0
	s_waitcnt lgkmcnt(0)
	s_load_dword s19, s[4:5], 0x54
	v_mov_b32_e32 v1, 0
	s_bitcmp1_b32 s0, 0
	s_cselect_b64 s[22:23], -1, 0
	s_mul_i32 s20, s17, s6
	s_ashr_i32 s7, s6, 31
	s_ashr_i32 s21, s20, 31
	s_lshl_b64 s[0:1], s[6:7], 3
	s_add_u32 s0, s14, s0
	s_addc_u32 s1, s15, s1
	s_load_dwordx2 s[24:25], s[0:1], 0x0
	s_load_dwordx2 s[2:3], s[4:5], 0x20
	v_lshlrev_b32_e32 v10, 3, v0
	v_mov_b32_e32 v2, v1
	v_cmp_gt_i32_e64 s[0:1], s17, v0
	s_waitcnt lgkmcnt(0)
	s_bfe_i64 s[14:15], s[24:25], 0x200000
	s_and_b32 s25, s19, 0xffff
	ds_write_b64 v10, v[1:2]
	s_and_saveexec_b64 s[26:27], s[0:1]
	s_cbranch_execz .LBB8_9
; %bb.1:
	s_bitcmp1_b32 s18, 0
	s_cselect_b64 s[18:19], -1, 0
	s_lshl_b64 s[28:29], s[20:21], 3
	s_add_u32 s33, s12, s28
	s_addc_u32 s35, s13, s29
	s_lshl_b64 s[30:31], s[14:15], 3
	s_add_u32 s34, s33, s30
	s_addc_u32 s35, s35, s31
	s_and_b64 s[18:19], s[18:19], s[22:23]
	s_and_b64 s[18:19], s[18:19], exec
	s_cselect_b32 s16, s16, 1
	s_mul_i32 s16, s16, s17
	v_cvt_f64_i32_e32 v[4:5], s16
	s_load_dwordx2 s[34:35], s[34:35], 0x0
	s_cmp_lg_u64 s[2:3], 0
	s_load_dwordx2 s[36:37], s[4:5], 0x38
	v_div_scale_f64 v[2:3], s[18:19], v[4:5], v[4:5], 1.0
	s_cselect_b64 s[38:39], -1, 0
	s_add_u32 s18, s2, s30
	s_mov_b64 s[4:5], 0
	s_addc_u32 s19, s3, s31
	s_lshl_b32 s16, s25, 3
	v_mov_b32_e32 v13, v0
	v_rcp_f64_e32 v[6:7], v[2:3]
	v_fma_f64 v[8:9], -v[2:3], v[6:7], 1.0
	v_fma_f64 v[6:7], v[6:7], v[8:9], v[6:7]
	v_div_scale_f64 v[8:9], vcc, 1.0, v[4:5], 1.0
	v_fma_f64 v[11:12], -v[2:3], v[6:7], 1.0
	v_fma_f64 v[6:7], v[6:7], v[11:12], v[6:7]
	v_mul_f64 v[11:12], v[8:9], v[6:7]
	v_fma_f64 v[2:3], -v[2:3], v[11:12], v[8:9]
	v_mov_b32_e32 v8, s29
	v_div_fmas_f64 v[6:7], v[2:3], v[6:7], v[11:12]
	s_waitcnt lgkmcnt(0)
	v_mov_b32_e32 v2, s34
	v_mov_b32_e32 v3, s35
	v_add_f64 v[2:3], s[36:37], -v[2:3]
	v_add_co_u32_e32 v11, vcc, s28, v10
	v_addc_co_u32_e32 v12, vcc, 0, v8, vcc
	v_cndmask_b32_e64 v8, 0, 1, s[38:39]
	v_cmp_ne_u32_e64 s[2:3], 1, v8
	v_div_fixup_f64 v[4:5], v[6:7], v[4:5], 1.0
	v_mov_b32_e32 v6, 0
	v_mov_b32_e32 v7, 0
	s_branch .LBB8_5
.LBB8_2:                                ;   in Loop: Header=BB8_5 Depth=1
	v_add_f64 v[6:7], v[6:7], -v[8:9]
	ds_write_b64 v10, v[6:7]
.LBB8_3:                                ;   in Loop: Header=BB8_5 Depth=1
	s_or_b64 exec, exec, s[30:31]
	v_mov_b32_e32 v15, s9
	v_add_co_u32_e32 v14, vcc, s8, v11
	v_addc_co_u32_e32 v15, vcc, v15, v12, vcc
	global_store_dwordx2 v[14:15], v[8:9], off
.LBB8_4:                                ;   in Loop: Header=BB8_5 Depth=1
	s_or_b64 exec, exec, s[28:29]
	v_add_u32_e32 v13, s25, v13
	v_cmp_le_i32_e32 vcc, s17, v13
	s_or_b64 s[4:5], vcc, s[4:5]
	v_add_co_u32_e32 v11, vcc, s16, v11
	v_addc_co_u32_e32 v12, vcc, 0, v12, vcc
	s_andn2_b64 exec, exec, s[4:5]
	s_cbranch_execz .LBB8_9
.LBB8_5:                                ; =>This Inner Loop Header: Depth=1
	v_cmp_ne_u32_e32 vcc, s24, v13
	s_and_saveexec_b64 s[28:29], vcc
	s_cbranch_execz .LBB8_4
; %bb.6:                                ;   in Loop: Header=BB8_5 Depth=1
	v_mov_b32_e32 v9, s13
	v_add_co_u32_e32 v8, vcc, s12, v11
	v_addc_co_u32_e32 v9, vcc, v9, v12, vcc
	global_load_dwordx2 v[8:9], v[8:9], off
	s_waitcnt vmcnt(0)
	v_add_f64 v[8:9], v[2:3], v[8:9]
	v_cmp_lt_f64_e32 vcc, 0, v[8:9]
	v_mov_b32_e32 v8, 0
	v_mov_b32_e32 v9, 0
	s_and_saveexec_b64 s[30:31], vcc
	s_cbranch_execz .LBB8_3
; %bb.7:                                ;   in Loop: Header=BB8_5 Depth=1
	v_mov_b32_e32 v9, v5
	s_and_b64 vcc, exec, s[2:3]
	v_mov_b32_e32 v8, v4
	s_cbranch_vccnz .LBB8_2
; %bb.8:                                ;   in Loop: Header=BB8_5 Depth=1
	global_load_dwordx2 v[8:9], v1, s[18:19]
	s_waitcnt vmcnt(0)
	v_mul_f64 v[8:9], v[4:5], v[8:9]
	s_branch .LBB8_2
.LBB8_9:
	s_or_b64 exec, exec, s[26:27]
	v_cmp_eq_u32_e32 vcc, 0, v0
	s_waitcnt vmcnt(0) lgkmcnt(0)
	s_barrier
	s_and_saveexec_b64 s[2:3], vcc
	s_cbranch_execz .LBB8_20
; %bb.10:
	s_cmp_eq_u32 s25, 0
	s_cbranch_scc1 .LBB8_15
; %bb.11:
	s_cmp_lt_u32 s25, 8
	s_cbranch_scc1 .LBB8_16
; %bb.12:
	v_mov_b32_e32 v1, 0
	s_and_b32 s4, s25, 0xfff8
	s_mov_b32 s5, 0
	v_mov_b32_e32 v2, 0
	s_mov_b32 s12, 0
.LBB8_13:                               ; =>This Inner Loop Header: Depth=1
	v_mov_b32_e32 v7, s5
	ds_read_b128 v[3:6], v7
	ds_read_b128 v[11:14], v7 offset:16
	s_add_i32 s12, s12, 8
	s_add_i32 s5, s5, 64
	s_cmp_eq_u32 s4, s12
	s_waitcnt lgkmcnt(1)
	v_add_f64 v[1:2], v[1:2], v[3:4]
	v_add_f64 v[1:2], v[1:2], v[5:6]
	s_waitcnt lgkmcnt(0)
	v_add_f64 v[1:2], v[1:2], v[11:12]
	v_add_f64 v[11:12], v[1:2], v[13:14]
	ds_read_b128 v[1:4], v7 offset:32
	ds_read_b128 v[5:8], v7 offset:48
	s_waitcnt lgkmcnt(1)
	v_add_f64 v[1:2], v[11:12], v[1:2]
	v_add_f64 v[1:2], v[1:2], v[3:4]
	s_waitcnt lgkmcnt(0)
	v_add_f64 v[1:2], v[1:2], v[5:6]
	v_add_f64 v[1:2], v[1:2], v[7:8]
	s_cbranch_scc0 .LBB8_13
; %bb.14:
	s_and_b32 s5, s25, 7
	s_cmp_eq_u32 s5, 0
	s_cbranch_scc0 .LBB8_17
	s_branch .LBB8_19
.LBB8_15:
	v_mov_b32_e32 v1, 0
	v_mov_b32_e32 v2, 0
	s_branch .LBB8_19
.LBB8_16:
	v_mov_b32_e32 v1, 0
	v_mov_b32_e32 v2, 0
	s_mov_b32 s4, 0
	s_and_b32 s5, s25, 7
	s_cmp_eq_u32 s5, 0
	s_cbranch_scc1 .LBB8_19
.LBB8_17:
	s_lshl_b32 s4, s4, 3
.LBB8_18:                               ; =>This Inner Loop Header: Depth=1
	v_mov_b32_e32 v3, s4
	ds_read_b64 v[3:4], v3
	s_add_i32 s4, s4, 8
	s_add_i32 s5, s5, -1
	s_cmp_lg_u32 s5, 0
	s_waitcnt lgkmcnt(0)
	v_add_f64 v[1:2], v[1:2], v[3:4]
	s_cbranch_scc1 .LBB8_18
.LBB8_19:
	s_lshl_b64 s[4:5], s[20:21], 3
	s_add_u32 s12, s8, s4
	s_addc_u32 s13, s9, s5
	s_lshl_b64 s[4:5], s[14:15], 3
	s_add_u32 s4, s12, s4
	s_addc_u32 s5, s13, s5
	v_mov_b32_e32 v3, 0
	global_store_dwordx2 v3, v[1:2], s[4:5]
.LBB8_20:
	s_or_b64 exec, exec, s[2:3]
	s_waitcnt vmcnt(0)
	s_barrier
	s_and_saveexec_b64 s[2:3], s[0:1]
	s_cbranch_execz .LBB8_23
; %bb.21:
	s_and_b64 s[0:1], s[22:23], exec
	s_cselect_b32 s1, 0, s7
	s_cselect_b32 s0, 0, s6
	s_lshl_b64 s[0:1], s[0:1], 3
	s_add_u32 s0, s10, s0
	s_addc_u32 s1, s11, s1
	s_lshl_b64 s[2:3], s[20:21], 3
	s_add_u32 s2, s8, s2
	s_addc_u32 s3, s9, s3
	v_mov_b32_e32 v2, s3
	v_add_co_u32_e32 v1, vcc, s2, v10
	v_mov_b32_e32 v3, 0
	v_addc_co_u32_e32 v2, vcc, 0, v2, vcc
	s_lshl_b32 s4, s25, 3
	s_mov_b64 s[2:3], 0
.LBB8_22:                               ; =>This Inner Loop Header: Depth=1
	global_load_dwordx2 v[4:5], v3, s[0:1]
	global_load_dwordx2 v[6:7], v[1:2], off
	v_add_u32_e32 v0, s25, v0
	v_cmp_le_i32_e32 vcc, s17, v0
	s_or_b64 s[2:3], vcc, s[2:3]
	s_waitcnt vmcnt(0)
	v_mul_f64 v[4:5], v[4:5], v[6:7]
	global_store_dwordx2 v[1:2], v[4:5], off
	v_add_co_u32_e32 v1, vcc, s4, v1
	v_addc_co_u32_e32 v2, vcc, 0, v2, vcc
	s_andn2_b64 exec, exec, s[2:3]
	s_cbranch_execnz .LBB8_22
.LBB8_23:
	s_endpgm
	.section	.rodata,"a",@progbits
	.p2align	6, 0x0
	.amdhsa_kernel _ZN2at6native12_GLOBAL__N_131MultiMarginLoss_backward_kernelILi1EdEEvPT0_PKS3_S6_PKlS6_iibS3_b
		.amdhsa_group_segment_fixed_size 1024
		.amdhsa_private_segment_fixed_size 0
		.amdhsa_kernarg_size 328
		.amdhsa_user_sgpr_count 6
		.amdhsa_user_sgpr_private_segment_buffer 1
		.amdhsa_user_sgpr_dispatch_ptr 0
		.amdhsa_user_sgpr_queue_ptr 0
		.amdhsa_user_sgpr_kernarg_segment_ptr 1
		.amdhsa_user_sgpr_dispatch_id 0
		.amdhsa_user_sgpr_flat_scratch_init 0
		.amdhsa_user_sgpr_private_segment_size 0
		.amdhsa_uses_dynamic_stack 0
		.amdhsa_system_sgpr_private_segment_wavefront_offset 0
		.amdhsa_system_sgpr_workgroup_id_x 1
		.amdhsa_system_sgpr_workgroup_id_y 0
		.amdhsa_system_sgpr_workgroup_id_z 0
		.amdhsa_system_sgpr_workgroup_info 0
		.amdhsa_system_vgpr_workitem_id 0
		.amdhsa_next_free_vgpr 16
		.amdhsa_next_free_sgpr 40
		.amdhsa_reserve_vcc 1
		.amdhsa_reserve_flat_scratch 0
		.amdhsa_float_round_mode_32 0
		.amdhsa_float_round_mode_16_64 0
		.amdhsa_float_denorm_mode_32 3
		.amdhsa_float_denorm_mode_16_64 3
		.amdhsa_dx10_clamp 1
		.amdhsa_ieee_mode 1
		.amdhsa_fp16_overflow 0
		.amdhsa_exception_fp_ieee_invalid_op 0
		.amdhsa_exception_fp_denorm_src 0
		.amdhsa_exception_fp_ieee_div_zero 0
		.amdhsa_exception_fp_ieee_overflow 0
		.amdhsa_exception_fp_ieee_underflow 0
		.amdhsa_exception_fp_ieee_inexact 0
		.amdhsa_exception_int_div_zero 0
	.end_amdhsa_kernel
	.section	.text._ZN2at6native12_GLOBAL__N_131MultiMarginLoss_backward_kernelILi1EdEEvPT0_PKS3_S6_PKlS6_iibS3_b,"axG",@progbits,_ZN2at6native12_GLOBAL__N_131MultiMarginLoss_backward_kernelILi1EdEEvPT0_PKS3_S6_PKlS6_iibS3_b,comdat
.Lfunc_end8:
	.size	_ZN2at6native12_GLOBAL__N_131MultiMarginLoss_backward_kernelILi1EdEEvPT0_PKS3_S6_PKlS6_iibS3_b, .Lfunc_end8-_ZN2at6native12_GLOBAL__N_131MultiMarginLoss_backward_kernelILi1EdEEvPT0_PKS3_S6_PKlS6_iibS3_b
                                        ; -- End function
	.set _ZN2at6native12_GLOBAL__N_131MultiMarginLoss_backward_kernelILi1EdEEvPT0_PKS3_S6_PKlS6_iibS3_b.num_vgpr, 16
	.set _ZN2at6native12_GLOBAL__N_131MultiMarginLoss_backward_kernelILi1EdEEvPT0_PKS3_S6_PKlS6_iibS3_b.num_agpr, 0
	.set _ZN2at6native12_GLOBAL__N_131MultiMarginLoss_backward_kernelILi1EdEEvPT0_PKS3_S6_PKlS6_iibS3_b.numbered_sgpr, 40
	.set _ZN2at6native12_GLOBAL__N_131MultiMarginLoss_backward_kernelILi1EdEEvPT0_PKS3_S6_PKlS6_iibS3_b.num_named_barrier, 0
	.set _ZN2at6native12_GLOBAL__N_131MultiMarginLoss_backward_kernelILi1EdEEvPT0_PKS3_S6_PKlS6_iibS3_b.private_seg_size, 0
	.set _ZN2at6native12_GLOBAL__N_131MultiMarginLoss_backward_kernelILi1EdEEvPT0_PKS3_S6_PKlS6_iibS3_b.uses_vcc, 1
	.set _ZN2at6native12_GLOBAL__N_131MultiMarginLoss_backward_kernelILi1EdEEvPT0_PKS3_S6_PKlS6_iibS3_b.uses_flat_scratch, 0
	.set _ZN2at6native12_GLOBAL__N_131MultiMarginLoss_backward_kernelILi1EdEEvPT0_PKS3_S6_PKlS6_iibS3_b.has_dyn_sized_stack, 0
	.set _ZN2at6native12_GLOBAL__N_131MultiMarginLoss_backward_kernelILi1EdEEvPT0_PKS3_S6_PKlS6_iibS3_b.has_recursion, 0
	.set _ZN2at6native12_GLOBAL__N_131MultiMarginLoss_backward_kernelILi1EdEEvPT0_PKS3_S6_PKlS6_iibS3_b.has_indirect_call, 0
	.section	.AMDGPU.csdata,"",@progbits
; Kernel info:
; codeLenInByte = 1032
; TotalNumSgprs: 44
; NumVgprs: 16
; ScratchSize: 0
; MemoryBound: 1
; FloatMode: 240
; IeeeMode: 1
; LDSByteSize: 1024 bytes/workgroup (compile time only)
; SGPRBlocks: 5
; VGPRBlocks: 3
; NumSGPRsForWavesPerEU: 44
; NumVGPRsForWavesPerEU: 16
; Occupancy: 10
; WaveLimiterHint : 1
; COMPUTE_PGM_RSRC2:SCRATCH_EN: 0
; COMPUTE_PGM_RSRC2:USER_SGPR: 6
; COMPUTE_PGM_RSRC2:TRAP_HANDLER: 0
; COMPUTE_PGM_RSRC2:TGID_X_EN: 1
; COMPUTE_PGM_RSRC2:TGID_Y_EN: 0
; COMPUTE_PGM_RSRC2:TGID_Z_EN: 0
; COMPUTE_PGM_RSRC2:TIDIG_COMP_CNT: 0
	.section	.text._ZN2at6native12_GLOBAL__N_131MultiMarginLoss_backward_kernelILi2EdEEvPT0_PKS3_S6_PKlS6_iibS3_b,"axG",@progbits,_ZN2at6native12_GLOBAL__N_131MultiMarginLoss_backward_kernelILi2EdEEvPT0_PKS3_S6_PKlS6_iibS3_b,comdat
	.globl	_ZN2at6native12_GLOBAL__N_131MultiMarginLoss_backward_kernelILi2EdEEvPT0_PKS3_S6_PKlS6_iibS3_b ; -- Begin function _ZN2at6native12_GLOBAL__N_131MultiMarginLoss_backward_kernelILi2EdEEvPT0_PKS3_S6_PKlS6_iibS3_b
	.p2align	8
	.type	_ZN2at6native12_GLOBAL__N_131MultiMarginLoss_backward_kernelILi2EdEEvPT0_PKS3_S6_PKlS6_iibS3_b,@function
_ZN2at6native12_GLOBAL__N_131MultiMarginLoss_backward_kernelILi2EdEEvPT0_PKS3_S6_PKlS6_iibS3_b: ; @_ZN2at6native12_GLOBAL__N_131MultiMarginLoss_backward_kernelILi2EdEEvPT0_PKS3_S6_PKlS6_iibS3_b
; %bb.0:
	s_load_dword s0, s[4:5], 0x40
	s_load_dwordx4 s[16:19], s[4:5], 0x28
	s_load_dwordx8 s[8:15], s[4:5], 0x0
	s_waitcnt lgkmcnt(0)
	s_load_dword s19, s[4:5], 0x54
	v_mov_b32_e32 v1, 0
	s_bitcmp1_b32 s0, 0
	s_cselect_b64 s[20:21], -1, 0
	s_mul_i32 s2, s17, s6
	s_ashr_i32 s7, s6, 31
	s_ashr_i32 s3, s2, 31
	s_lshl_b64 s[0:1], s[6:7], 3
	s_add_u32 s0, s14, s0
	s_addc_u32 s1, s15, s1
	s_load_dwordx2 s[22:23], s[0:1], 0x0
	s_load_dwordx2 s[26:27], s[4:5], 0x20
	v_lshlrev_b32_e32 v12, 3, v0
	v_mov_b32_e32 v2, v1
	v_cmp_gt_i32_e64 s[0:1], s17, v0
	s_waitcnt lgkmcnt(0)
	s_bfe_i64 s[14:15], s[22:23], 0x200000
	s_and_b32 s23, s19, 0xffff
	ds_write_b64 v12, v[1:2]
	s_and_saveexec_b64 s[24:25], s[0:1]
	s_cbranch_execz .LBB9_9
; %bb.1:
	s_bitcmp1_b32 s18, 0
	s_cselect_b64 s[18:19], -1, 0
	s_lshl_b64 s[28:29], s[2:3], 3
	s_add_u32 s33, s12, s28
	s_addc_u32 s35, s13, s29
	s_lshl_b64 s[30:31], s[14:15], 3
	s_add_u32 s34, s33, s30
	s_addc_u32 s35, s35, s31
	s_and_b64 s[18:19], s[18:19], s[20:21]
	s_and_b64 s[18:19], s[18:19], exec
	s_cselect_b32 s16, s16, 1
	s_mul_i32 s16, s16, s17
	v_cvt_f64_i32_e32 v[2:3], s16
	s_load_dwordx2 s[34:35], s[34:35], 0x0
	s_cmp_lg_u64 s[26:27], 0
	s_load_dwordx2 s[36:37], s[4:5], 0x38
	v_div_scale_f64 v[4:5], s[18:19], v[2:3], v[2:3], 1.0
	s_cselect_b64 s[18:19], -1, 0
	s_add_u32 s26, s26, s30
	s_mov_b64 s[4:5], 0
	s_addc_u32 s27, s27, s31
	s_lshl_b32 s16, s23, 3
	v_mov_b32_e32 v15, v0
	v_rcp_f64_e32 v[6:7], v[4:5]
	v_fma_f64 v[8:9], -v[4:5], v[6:7], 1.0
	v_fma_f64 v[6:7], v[6:7], v[8:9], v[6:7]
	v_div_scale_f64 v[8:9], vcc, 1.0, v[2:3], 1.0
	v_fma_f64 v[10:11], -v[4:5], v[6:7], 1.0
	v_fma_f64 v[6:7], v[6:7], v[10:11], v[6:7]
	v_mul_f64 v[10:11], v[8:9], v[6:7]
	v_fma_f64 v[4:5], -v[4:5], v[10:11], v[8:9]
	v_div_fmas_f64 v[4:5], v[4:5], v[6:7], v[10:11]
	v_mov_b32_e32 v6, s29
	v_add_co_u32_e32 v13, vcc, s28, v12
	v_addc_co_u32_e32 v14, vcc, 0, v6, vcc
	v_mov_b32_e32 v6, 0
	v_mov_b32_e32 v7, 0
	v_div_fixup_f64 v[4:5], v[4:5], v[2:3], 1.0
	s_waitcnt lgkmcnt(0)
	v_mov_b32_e32 v2, s34
	v_mov_b32_e32 v3, s35
	v_add_f64 v[2:3], s[36:37], -v[2:3]
	v_add_f64 v[4:5], v[4:5], v[4:5]
	s_branch .LBB9_5
.LBB9_2:                                ;   in Loop: Header=BB9_5 Depth=1
	v_add_f64 v[6:7], v[6:7], -v[8:9]
	ds_write_b64 v12, v[6:7]
.LBB9_3:                                ;   in Loop: Header=BB9_5 Depth=1
	s_or_b64 exec, exec, s[30:31]
	v_mov_b32_e32 v11, s9
	v_add_co_u32_e32 v10, vcc, s8, v13
	v_addc_co_u32_e32 v11, vcc, v11, v14, vcc
	global_store_dwordx2 v[10:11], v[8:9], off
.LBB9_4:                                ;   in Loop: Header=BB9_5 Depth=1
	s_or_b64 exec, exec, s[28:29]
	v_add_u32_e32 v15, s23, v15
	v_cmp_le_i32_e32 vcc, s17, v15
	s_or_b64 s[4:5], vcc, s[4:5]
	v_add_co_u32_e32 v13, vcc, s16, v13
	v_addc_co_u32_e32 v14, vcc, 0, v14, vcc
	s_andn2_b64 exec, exec, s[4:5]
	s_cbranch_execz .LBB9_9
.LBB9_5:                                ; =>This Inner Loop Header: Depth=1
	v_cmp_ne_u32_e32 vcc, s22, v15
	s_and_saveexec_b64 s[28:29], vcc
	s_cbranch_execz .LBB9_4
; %bb.6:                                ;   in Loop: Header=BB9_5 Depth=1
	v_mov_b32_e32 v9, s13
	v_add_co_u32_e32 v8, vcc, s12, v13
	v_addc_co_u32_e32 v9, vcc, v9, v14, vcc
	global_load_dwordx2 v[8:9], v[8:9], off
	s_waitcnt vmcnt(0)
	v_add_f64 v[10:11], v[2:3], v[8:9]
	v_mov_b32_e32 v8, 0
	v_mov_b32_e32 v9, 0
	v_cmp_lt_f64_e32 vcc, 0, v[10:11]
	s_and_saveexec_b64 s[30:31], vcc
	s_cbranch_execz .LBB9_3
; %bb.7:                                ;   in Loop: Header=BB9_5 Depth=1
	v_mul_f64 v[8:9], v[4:5], v[10:11]
	s_andn2_b64 vcc, exec, s[18:19]
	s_cbranch_vccnz .LBB9_2
; %bb.8:                                ;   in Loop: Header=BB9_5 Depth=1
	global_load_dwordx2 v[10:11], v1, s[26:27]
	s_waitcnt vmcnt(0)
	v_mul_f64 v[8:9], v[8:9], v[10:11]
	s_branch .LBB9_2
.LBB9_9:
	s_or_b64 exec, exec, s[24:25]
	v_cmp_eq_u32_e32 vcc, 0, v0
	s_waitcnt vmcnt(0) lgkmcnt(0)
	s_barrier
	s_and_saveexec_b64 s[4:5], vcc
	s_cbranch_execz .LBB9_20
; %bb.10:
	s_cmp_eq_u32 s23, 0
	s_cbranch_scc1 .LBB9_15
; %bb.11:
	s_cmp_lt_u32 s23, 8
	s_cbranch_scc1 .LBB9_16
; %bb.12:
	v_mov_b32_e32 v1, 0
	s_and_b32 s12, s23, 0xfff8
	s_mov_b32 s13, 0
	v_mov_b32_e32 v2, 0
	s_mov_b32 s16, 0
.LBB9_13:                               ; =>This Inner Loop Header: Depth=1
	v_mov_b32_e32 v11, s13
	ds_read_b128 v[3:6], v11
	ds_read_b128 v[7:10], v11 offset:16
	s_add_i32 s16, s16, 8
	s_add_i32 s13, s13, 64
	s_cmp_eq_u32 s12, s16
	s_waitcnt lgkmcnt(1)
	v_add_f64 v[1:2], v[1:2], v[3:4]
	v_add_f64 v[1:2], v[1:2], v[5:6]
	s_waitcnt lgkmcnt(0)
	v_add_f64 v[1:2], v[1:2], v[7:8]
	v_add_f64 v[9:10], v[1:2], v[9:10]
	ds_read_b128 v[1:4], v11 offset:32
	ds_read_b128 v[5:8], v11 offset:48
	s_waitcnt lgkmcnt(1)
	v_add_f64 v[1:2], v[9:10], v[1:2]
	v_add_f64 v[1:2], v[1:2], v[3:4]
	s_waitcnt lgkmcnt(0)
	v_add_f64 v[1:2], v[1:2], v[5:6]
	v_add_f64 v[1:2], v[1:2], v[7:8]
	s_cbranch_scc0 .LBB9_13
; %bb.14:
	s_and_b32 s13, s23, 7
	s_cmp_eq_u32 s13, 0
	s_cbranch_scc0 .LBB9_17
	s_branch .LBB9_19
.LBB9_15:
	v_mov_b32_e32 v1, 0
	v_mov_b32_e32 v2, 0
	s_branch .LBB9_19
.LBB9_16:
	v_mov_b32_e32 v1, 0
	v_mov_b32_e32 v2, 0
	s_mov_b32 s12, 0
	s_and_b32 s13, s23, 7
	s_cmp_eq_u32 s13, 0
	s_cbranch_scc1 .LBB9_19
.LBB9_17:
	s_lshl_b32 s12, s12, 3
.LBB9_18:                               ; =>This Inner Loop Header: Depth=1
	v_mov_b32_e32 v3, s12
	ds_read_b64 v[3:4], v3
	s_add_i32 s12, s12, 8
	s_add_i32 s13, s13, -1
	s_cmp_lg_u32 s13, 0
	s_waitcnt lgkmcnt(0)
	v_add_f64 v[1:2], v[1:2], v[3:4]
	s_cbranch_scc1 .LBB9_18
.LBB9_19:
	s_lshl_b64 s[12:13], s[2:3], 3
	s_add_u32 s16, s8, s12
	s_addc_u32 s18, s9, s13
	s_lshl_b64 s[12:13], s[14:15], 3
	s_add_u32 s12, s16, s12
	s_addc_u32 s13, s18, s13
	v_mov_b32_e32 v3, 0
	global_store_dwordx2 v3, v[1:2], s[12:13]
.LBB9_20:
	s_or_b64 exec, exec, s[4:5]
	s_waitcnt vmcnt(0)
	s_barrier
	s_and_saveexec_b64 s[4:5], s[0:1]
	s_cbranch_execz .LBB9_23
; %bb.21:
	s_and_b64 s[0:1], s[20:21], exec
	s_cselect_b32 s1, 0, s7
	s_cselect_b32 s0, 0, s6
	s_lshl_b64 s[0:1], s[0:1], 3
	s_add_u32 s0, s10, s0
	s_addc_u32 s1, s11, s1
	s_lshl_b64 s[2:3], s[2:3], 3
	s_add_u32 s2, s8, s2
	s_addc_u32 s3, s9, s3
	v_mov_b32_e32 v2, s3
	v_add_co_u32_e32 v1, vcc, s2, v12
	v_mov_b32_e32 v3, 0
	v_addc_co_u32_e32 v2, vcc, 0, v2, vcc
	s_lshl_b32 s4, s23, 3
	s_mov_b64 s[2:3], 0
.LBB9_22:                               ; =>This Inner Loop Header: Depth=1
	global_load_dwordx2 v[4:5], v3, s[0:1]
	global_load_dwordx2 v[6:7], v[1:2], off
	v_add_u32_e32 v0, s23, v0
	v_cmp_le_i32_e32 vcc, s17, v0
	s_or_b64 s[2:3], vcc, s[2:3]
	s_waitcnt vmcnt(0)
	v_mul_f64 v[4:5], v[4:5], v[6:7]
	global_store_dwordx2 v[1:2], v[4:5], off
	v_add_co_u32_e32 v1, vcc, s4, v1
	v_addc_co_u32_e32 v2, vcc, 0, v2, vcc
	s_andn2_b64 exec, exec, s[2:3]
	s_cbranch_execnz .LBB9_22
.LBB9_23:
	s_endpgm
	.section	.rodata,"a",@progbits
	.p2align	6, 0x0
	.amdhsa_kernel _ZN2at6native12_GLOBAL__N_131MultiMarginLoss_backward_kernelILi2EdEEvPT0_PKS3_S6_PKlS6_iibS3_b
		.amdhsa_group_segment_fixed_size 1024
		.amdhsa_private_segment_fixed_size 0
		.amdhsa_kernarg_size 328
		.amdhsa_user_sgpr_count 6
		.amdhsa_user_sgpr_private_segment_buffer 1
		.amdhsa_user_sgpr_dispatch_ptr 0
		.amdhsa_user_sgpr_queue_ptr 0
		.amdhsa_user_sgpr_kernarg_segment_ptr 1
		.amdhsa_user_sgpr_dispatch_id 0
		.amdhsa_user_sgpr_flat_scratch_init 0
		.amdhsa_user_sgpr_private_segment_size 0
		.amdhsa_uses_dynamic_stack 0
		.amdhsa_system_sgpr_private_segment_wavefront_offset 0
		.amdhsa_system_sgpr_workgroup_id_x 1
		.amdhsa_system_sgpr_workgroup_id_y 0
		.amdhsa_system_sgpr_workgroup_id_z 0
		.amdhsa_system_sgpr_workgroup_info 0
		.amdhsa_system_vgpr_workitem_id 0
		.amdhsa_next_free_vgpr 16
		.amdhsa_next_free_sgpr 38
		.amdhsa_reserve_vcc 1
		.amdhsa_reserve_flat_scratch 0
		.amdhsa_float_round_mode_32 0
		.amdhsa_float_round_mode_16_64 0
		.amdhsa_float_denorm_mode_32 3
		.amdhsa_float_denorm_mode_16_64 3
		.amdhsa_dx10_clamp 1
		.amdhsa_ieee_mode 1
		.amdhsa_fp16_overflow 0
		.amdhsa_exception_fp_ieee_invalid_op 0
		.amdhsa_exception_fp_denorm_src 0
		.amdhsa_exception_fp_ieee_div_zero 0
		.amdhsa_exception_fp_ieee_overflow 0
		.amdhsa_exception_fp_ieee_underflow 0
		.amdhsa_exception_fp_ieee_inexact 0
		.amdhsa_exception_int_div_zero 0
	.end_amdhsa_kernel
	.section	.text._ZN2at6native12_GLOBAL__N_131MultiMarginLoss_backward_kernelILi2EdEEvPT0_PKS3_S6_PKlS6_iibS3_b,"axG",@progbits,_ZN2at6native12_GLOBAL__N_131MultiMarginLoss_backward_kernelILi2EdEEvPT0_PKS3_S6_PKlS6_iibS3_b,comdat
.Lfunc_end9:
	.size	_ZN2at6native12_GLOBAL__N_131MultiMarginLoss_backward_kernelILi2EdEEvPT0_PKS3_S6_PKlS6_iibS3_b, .Lfunc_end9-_ZN2at6native12_GLOBAL__N_131MultiMarginLoss_backward_kernelILi2EdEEvPT0_PKS3_S6_PKlS6_iibS3_b
                                        ; -- End function
	.set _ZN2at6native12_GLOBAL__N_131MultiMarginLoss_backward_kernelILi2EdEEvPT0_PKS3_S6_PKlS6_iibS3_b.num_vgpr, 16
	.set _ZN2at6native12_GLOBAL__N_131MultiMarginLoss_backward_kernelILi2EdEEvPT0_PKS3_S6_PKlS6_iibS3_b.num_agpr, 0
	.set _ZN2at6native12_GLOBAL__N_131MultiMarginLoss_backward_kernelILi2EdEEvPT0_PKS3_S6_PKlS6_iibS3_b.numbered_sgpr, 38
	.set _ZN2at6native12_GLOBAL__N_131MultiMarginLoss_backward_kernelILi2EdEEvPT0_PKS3_S6_PKlS6_iibS3_b.num_named_barrier, 0
	.set _ZN2at6native12_GLOBAL__N_131MultiMarginLoss_backward_kernelILi2EdEEvPT0_PKS3_S6_PKlS6_iibS3_b.private_seg_size, 0
	.set _ZN2at6native12_GLOBAL__N_131MultiMarginLoss_backward_kernelILi2EdEEvPT0_PKS3_S6_PKlS6_iibS3_b.uses_vcc, 1
	.set _ZN2at6native12_GLOBAL__N_131MultiMarginLoss_backward_kernelILi2EdEEvPT0_PKS3_S6_PKlS6_iibS3_b.uses_flat_scratch, 0
	.set _ZN2at6native12_GLOBAL__N_131MultiMarginLoss_backward_kernelILi2EdEEvPT0_PKS3_S6_PKlS6_iibS3_b.has_dyn_sized_stack, 0
	.set _ZN2at6native12_GLOBAL__N_131MultiMarginLoss_backward_kernelILi2EdEEvPT0_PKS3_S6_PKlS6_iibS3_b.has_recursion, 0
	.set _ZN2at6native12_GLOBAL__N_131MultiMarginLoss_backward_kernelILi2EdEEvPT0_PKS3_S6_PKlS6_iibS3_b.has_indirect_call, 0
	.section	.AMDGPU.csdata,"",@progbits
; Kernel info:
; codeLenInByte = 1024
; TotalNumSgprs: 42
; NumVgprs: 16
; ScratchSize: 0
; MemoryBound: 1
; FloatMode: 240
; IeeeMode: 1
; LDSByteSize: 1024 bytes/workgroup (compile time only)
; SGPRBlocks: 5
; VGPRBlocks: 3
; NumSGPRsForWavesPerEU: 42
; NumVGPRsForWavesPerEU: 16
; Occupancy: 10
; WaveLimiterHint : 1
; COMPUTE_PGM_RSRC2:SCRATCH_EN: 0
; COMPUTE_PGM_RSRC2:USER_SGPR: 6
; COMPUTE_PGM_RSRC2:TRAP_HANDLER: 0
; COMPUTE_PGM_RSRC2:TGID_X_EN: 1
; COMPUTE_PGM_RSRC2:TGID_Y_EN: 0
; COMPUTE_PGM_RSRC2:TGID_Z_EN: 0
; COMPUTE_PGM_RSRC2:TIDIG_COMP_CNT: 0
	.section	.text._ZN2at6native12_GLOBAL__N_131MultiMarginLoss_backward_kernelILi1EfEEvPT0_PKS3_S6_PKlS6_iibS3_b,"axG",@progbits,_ZN2at6native12_GLOBAL__N_131MultiMarginLoss_backward_kernelILi1EfEEvPT0_PKS3_S6_PKlS6_iibS3_b,comdat
	.globl	_ZN2at6native12_GLOBAL__N_131MultiMarginLoss_backward_kernelILi1EfEEvPT0_PKS3_S6_PKlS6_iibS3_b ; -- Begin function _ZN2at6native12_GLOBAL__N_131MultiMarginLoss_backward_kernelILi1EfEEvPT0_PKS3_S6_PKlS6_iibS3_b
	.p2align	8
	.type	_ZN2at6native12_GLOBAL__N_131MultiMarginLoss_backward_kernelILi1EfEEvPT0_PKS3_S6_PKlS6_iibS3_b,@function
_ZN2at6native12_GLOBAL__N_131MultiMarginLoss_backward_kernelILi1EfEEvPT0_PKS3_S6_PKlS6_iibS3_b: ; @_ZN2at6native12_GLOBAL__N_131MultiMarginLoss_backward_kernelILi1EfEEvPT0_PKS3_S6_PKlS6_iibS3_b
; %bb.0:
	s_load_dword s0, s[4:5], 0x38
	s_load_dwordx4 s[16:19], s[4:5], 0x28
	s_load_dwordx8 s[8:15], s[4:5], 0x0
	s_load_dword s24, s[4:5], 0x4c
	v_lshlrev_b32_e32 v1, 2, v0
	s_waitcnt lgkmcnt(0)
	s_bitcmp1_b32 s0, 0
	s_cselect_b64 s[22:23], -1, 0
	s_mul_i32 s20, s17, s6
	s_ashr_i32 s7, s6, 31
	s_ashr_i32 s21, s20, 31
	s_lshl_b64 s[0:1], s[6:7], 3
	s_add_u32 s0, s14, s0
	s_addc_u32 s1, s15, s1
	s_load_dwordx2 s[14:15], s[0:1], 0x0
	s_load_dwordx2 s[2:3], s[4:5], 0x20
	v_mov_b32_e32 v2, 0
	v_cmp_gt_i32_e64 s[0:1], s17, v0
	ds_write_b32 v1, v2
	s_waitcnt lgkmcnt(0)
	s_bfe_i64 s[4:5], s[14:15], 0x200000
	s_and_b32 s15, s24, 0xffff
	s_and_saveexec_b64 s[24:25], s[0:1]
	s_cbranch_execz .LBB10_9
; %bb.1:
	s_bitcmp1_b32 s18, 0
	s_cselect_b64 s[26:27], -1, 0
	s_lshl_b64 s[28:29], s[20:21], 2
	s_add_u32 s18, s12, s28
	s_addc_u32 s33, s13, s29
	s_lshl_b64 s[30:31], s[4:5], 2
	s_add_u32 s34, s18, s30
	s_addc_u32 s35, s33, s31
	s_and_b64 s[26:27], s[26:27], s[22:23]
	s_and_b64 s[26:27], s[26:27], exec
	s_cselect_b32 s16, s16, 1
	s_mul_i32 s16, s16, s17
	v_cvt_f32_i32_e32 v7, s16
	s_load_dword s18, s[34:35], 0x0
	s_cmp_lg_u64 s[2:3], 0
	s_cselect_b64 s[34:35], -1, 0
	v_div_scale_f32 v4, s[26:27], v7, v7, 1.0
	v_div_scale_f32 v5, vcc, 1.0, v7, 1.0
	s_mov_b64 s[26:27], 0
	v_mov_b32_e32 v3, 0
	v_rcp_f32_e32 v6, v4
	v_fma_f32 v8, -v4, v6, 1.0
	v_fmac_f32_e32 v6, v8, v6
	v_mul_f32_e32 v8, v5, v6
	v_fma_f32 v9, -v4, v8, v5
	v_fmac_f32_e32 v8, v9, v6
	v_fma_f32 v4, -v4, v8, v5
	v_div_fmas_f32 v8, v4, v6, v8
	v_add_co_u32_e32 v4, vcc, s28, v1
	s_add_u32 s28, s2, s30
	v_cndmask_b32_e64 v6, 0, 1, s[34:35]
	v_mov_b32_e32 v5, s29
	s_addc_u32 s29, s3, s31
	v_cmp_ne_u32_e64 s[2:3], 1, v6
	s_waitcnt lgkmcnt(0)
	v_mov_b32_e32 v6, s18
	v_addc_co_u32_e32 v5, vcc, 0, v5, vcc
	s_lshl_b32 s16, s15, 2
	v_sub_f32_e32 v6, s19, v6
	v_div_fixup_f32 v7, v8, v7, 1.0
	v_mov_b32_e32 v8, v0
	s_branch .LBB10_5
.LBB10_2:                               ;   in Loop: Header=BB10_5 Depth=1
	v_sub_f32_e32 v3, v3, v9
	ds_write_b32 v1, v3
.LBB10_3:                               ;   in Loop: Header=BB10_5 Depth=1
	s_or_b64 exec, exec, s[30:31]
	v_mov_b32_e32 v11, s9
	v_add_co_u32_e32 v10, vcc, s8, v4
	v_addc_co_u32_e32 v11, vcc, v11, v5, vcc
	global_store_dword v[10:11], v9, off
.LBB10_4:                               ;   in Loop: Header=BB10_5 Depth=1
	s_or_b64 exec, exec, s[18:19]
	v_add_u32_e32 v8, s15, v8
	v_cmp_le_i32_e32 vcc, s17, v8
	s_or_b64 s[26:27], vcc, s[26:27]
	v_add_co_u32_e32 v4, vcc, s16, v4
	v_addc_co_u32_e32 v5, vcc, 0, v5, vcc
	s_andn2_b64 exec, exec, s[26:27]
	s_cbranch_execz .LBB10_9
.LBB10_5:                               ; =>This Inner Loop Header: Depth=1
	v_cmp_ne_u32_e32 vcc, s14, v8
	s_and_saveexec_b64 s[18:19], vcc
	s_cbranch_execz .LBB10_4
; %bb.6:                                ;   in Loop: Header=BB10_5 Depth=1
	v_mov_b32_e32 v10, s13
	v_add_co_u32_e32 v9, vcc, s12, v4
	v_addc_co_u32_e32 v10, vcc, v10, v5, vcc
	global_load_dword v9, v[9:10], off
	s_waitcnt vmcnt(0)
	v_add_f32_e32 v10, v6, v9
	v_mov_b32_e32 v9, 0
	v_cmp_lt_f32_e32 vcc, 0, v10
	s_and_saveexec_b64 s[30:31], vcc
	s_cbranch_execz .LBB10_3
; %bb.7:                                ;   in Loop: Header=BB10_5 Depth=1
	s_and_b64 vcc, exec, s[2:3]
	v_mov_b32_e32 v9, v7
	s_cbranch_vccnz .LBB10_2
; %bb.8:                                ;   in Loop: Header=BB10_5 Depth=1
	global_load_dword v9, v2, s[28:29]
	s_waitcnt vmcnt(0)
	v_mul_f32_e32 v9, v7, v9
	s_branch .LBB10_2
.LBB10_9:
	s_or_b64 exec, exec, s[24:25]
	v_cmp_eq_u32_e32 vcc, 0, v0
	s_waitcnt vmcnt(0) lgkmcnt(0)
	s_barrier
	s_and_saveexec_b64 s[2:3], vcc
	s_cbranch_execz .LBB10_20
; %bb.10:
	s_cmp_eq_u32 s15, 0
	s_cbranch_scc1 .LBB10_15
; %bb.11:
	s_cmp_lt_u32 s15, 8
	s_cbranch_scc1 .LBB10_16
; %bb.12:
	s_and_b32 s12, s15, 0xfff8
	s_mov_b32 s13, 0
	v_mov_b32_e32 v2, 0
	s_mov_b32 s14, 0
.LBB10_13:                              ; =>This Inner Loop Header: Depth=1
	v_mov_b32_e32 v7, s13
	ds_read_b128 v[3:6], v7
	ds_read_b128 v[7:10], v7 offset:16
	s_add_i32 s14, s14, 8
	s_add_i32 s13, s13, 32
	s_cmp_eq_u32 s12, s14
	s_waitcnt lgkmcnt(1)
	v_add_f32_e32 v2, v2, v3
	v_add_f32_e32 v2, v2, v4
	;; [unrolled: 1-line block ×4, first 2 shown]
	s_waitcnt lgkmcnt(0)
	v_add_f32_e32 v2, v2, v7
	v_add_f32_e32 v2, v2, v8
	;; [unrolled: 1-line block ×4, first 2 shown]
	s_cbranch_scc0 .LBB10_13
; %bb.14:
	s_and_b32 s13, s15, 7
	s_cmp_eq_u32 s13, 0
	s_cbranch_scc0 .LBB10_17
	s_branch .LBB10_19
.LBB10_15:
	v_mov_b32_e32 v2, 0
	s_branch .LBB10_19
.LBB10_16:
	s_mov_b32 s12, 0
	v_mov_b32_e32 v2, 0
	s_and_b32 s13, s15, 7
	s_cmp_eq_u32 s13, 0
	s_cbranch_scc1 .LBB10_19
.LBB10_17:
	s_lshl_b32 s12, s12, 2
.LBB10_18:                              ; =>This Inner Loop Header: Depth=1
	v_mov_b32_e32 v3, s12
	ds_read_b32 v3, v3
	s_add_i32 s12, s12, 4
	s_add_i32 s13, s13, -1
	s_cmp_lg_u32 s13, 0
	s_waitcnt lgkmcnt(0)
	v_add_f32_e32 v2, v2, v3
	s_cbranch_scc1 .LBB10_18
.LBB10_19:
	s_lshl_b64 s[12:13], s[20:21], 2
	s_add_u32 s12, s8, s12
	s_addc_u32 s13, s9, s13
	s_lshl_b64 s[4:5], s[4:5], 2
	s_add_u32 s4, s12, s4
	s_addc_u32 s5, s13, s5
	v_mov_b32_e32 v3, 0
	global_store_dword v3, v2, s[4:5]
.LBB10_20:
	s_or_b64 exec, exec, s[2:3]
	s_waitcnt vmcnt(0)
	s_barrier
	s_and_saveexec_b64 s[2:3], s[0:1]
	s_cbranch_execz .LBB10_23
; %bb.21:
	s_and_b64 s[0:1], s[22:23], exec
	s_cselect_b32 s1, 0, s7
	s_cselect_b32 s0, 0, s6
	s_lshl_b64 s[0:1], s[0:1], 2
	s_add_u32 s0, s10, s0
	s_addc_u32 s1, s11, s1
	s_lshl_b64 s[2:3], s[20:21], 2
	s_add_u32 s2, s8, s2
	s_addc_u32 s3, s9, s3
	v_mov_b32_e32 v2, s3
	v_add_co_u32_e32 v1, vcc, s2, v1
	v_mov_b32_e32 v3, 0
	v_addc_co_u32_e32 v2, vcc, 0, v2, vcc
	s_lshl_b32 s4, s15, 2
	s_mov_b64 s[2:3], 0
.LBB10_22:                              ; =>This Inner Loop Header: Depth=1
	global_load_dword v4, v3, s[0:1]
	global_load_dword v5, v[1:2], off
	v_add_u32_e32 v0, s15, v0
	v_cmp_le_i32_e32 vcc, s17, v0
	s_or_b64 s[2:3], vcc, s[2:3]
	s_waitcnt vmcnt(0)
	v_mul_f32_e32 v4, v4, v5
	global_store_dword v[1:2], v4, off
	v_add_co_u32_e32 v1, vcc, s4, v1
	v_addc_co_u32_e32 v2, vcc, 0, v2, vcc
	s_andn2_b64 exec, exec, s[2:3]
	s_cbranch_execnz .LBB10_22
.LBB10_23:
	s_endpgm
	.section	.rodata,"a",@progbits
	.p2align	6, 0x0
	.amdhsa_kernel _ZN2at6native12_GLOBAL__N_131MultiMarginLoss_backward_kernelILi1EfEEvPT0_PKS3_S6_PKlS6_iibS3_b
		.amdhsa_group_segment_fixed_size 512
		.amdhsa_private_segment_fixed_size 0
		.amdhsa_kernarg_size 320
		.amdhsa_user_sgpr_count 6
		.amdhsa_user_sgpr_private_segment_buffer 1
		.amdhsa_user_sgpr_dispatch_ptr 0
		.amdhsa_user_sgpr_queue_ptr 0
		.amdhsa_user_sgpr_kernarg_segment_ptr 1
		.amdhsa_user_sgpr_dispatch_id 0
		.amdhsa_user_sgpr_flat_scratch_init 0
		.amdhsa_user_sgpr_private_segment_size 0
		.amdhsa_uses_dynamic_stack 0
		.amdhsa_system_sgpr_private_segment_wavefront_offset 0
		.amdhsa_system_sgpr_workgroup_id_x 1
		.amdhsa_system_sgpr_workgroup_id_y 0
		.amdhsa_system_sgpr_workgroup_id_z 0
		.amdhsa_system_sgpr_workgroup_info 0
		.amdhsa_system_vgpr_workitem_id 0
		.amdhsa_next_free_vgpr 12
		.amdhsa_next_free_sgpr 36
		.amdhsa_reserve_vcc 1
		.amdhsa_reserve_flat_scratch 0
		.amdhsa_float_round_mode_32 0
		.amdhsa_float_round_mode_16_64 0
		.amdhsa_float_denorm_mode_32 3
		.amdhsa_float_denorm_mode_16_64 3
		.amdhsa_dx10_clamp 1
		.amdhsa_ieee_mode 1
		.amdhsa_fp16_overflow 0
		.amdhsa_exception_fp_ieee_invalid_op 0
		.amdhsa_exception_fp_denorm_src 0
		.amdhsa_exception_fp_ieee_div_zero 0
		.amdhsa_exception_fp_ieee_overflow 0
		.amdhsa_exception_fp_ieee_underflow 0
		.amdhsa_exception_fp_ieee_inexact 0
		.amdhsa_exception_int_div_zero 0
	.end_amdhsa_kernel
	.section	.text._ZN2at6native12_GLOBAL__N_131MultiMarginLoss_backward_kernelILi1EfEEvPT0_PKS3_S6_PKlS6_iibS3_b,"axG",@progbits,_ZN2at6native12_GLOBAL__N_131MultiMarginLoss_backward_kernelILi1EfEEvPT0_PKS3_S6_PKlS6_iibS3_b,comdat
.Lfunc_end10:
	.size	_ZN2at6native12_GLOBAL__N_131MultiMarginLoss_backward_kernelILi1EfEEvPT0_PKS3_S6_PKlS6_iibS3_b, .Lfunc_end10-_ZN2at6native12_GLOBAL__N_131MultiMarginLoss_backward_kernelILi1EfEEvPT0_PKS3_S6_PKlS6_iibS3_b
                                        ; -- End function
	.set _ZN2at6native12_GLOBAL__N_131MultiMarginLoss_backward_kernelILi1EfEEvPT0_PKS3_S6_PKlS6_iibS3_b.num_vgpr, 12
	.set _ZN2at6native12_GLOBAL__N_131MultiMarginLoss_backward_kernelILi1EfEEvPT0_PKS3_S6_PKlS6_iibS3_b.num_agpr, 0
	.set _ZN2at6native12_GLOBAL__N_131MultiMarginLoss_backward_kernelILi1EfEEvPT0_PKS3_S6_PKlS6_iibS3_b.numbered_sgpr, 36
	.set _ZN2at6native12_GLOBAL__N_131MultiMarginLoss_backward_kernelILi1EfEEvPT0_PKS3_S6_PKlS6_iibS3_b.num_named_barrier, 0
	.set _ZN2at6native12_GLOBAL__N_131MultiMarginLoss_backward_kernelILi1EfEEvPT0_PKS3_S6_PKlS6_iibS3_b.private_seg_size, 0
	.set _ZN2at6native12_GLOBAL__N_131MultiMarginLoss_backward_kernelILi1EfEEvPT0_PKS3_S6_PKlS6_iibS3_b.uses_vcc, 1
	.set _ZN2at6native12_GLOBAL__N_131MultiMarginLoss_backward_kernelILi1EfEEvPT0_PKS3_S6_PKlS6_iibS3_b.uses_flat_scratch, 0
	.set _ZN2at6native12_GLOBAL__N_131MultiMarginLoss_backward_kernelILi1EfEEvPT0_PKS3_S6_PKlS6_iibS3_b.has_dyn_sized_stack, 0
	.set _ZN2at6native12_GLOBAL__N_131MultiMarginLoss_backward_kernelILi1EfEEvPT0_PKS3_S6_PKlS6_iibS3_b.has_recursion, 0
	.set _ZN2at6native12_GLOBAL__N_131MultiMarginLoss_backward_kernelILi1EfEEvPT0_PKS3_S6_PKlS6_iibS3_b.has_indirect_call, 0
	.section	.AMDGPU.csdata,"",@progbits
; Kernel info:
; codeLenInByte = 900
; TotalNumSgprs: 40
; NumVgprs: 12
; ScratchSize: 0
; MemoryBound: 0
; FloatMode: 240
; IeeeMode: 1
; LDSByteSize: 512 bytes/workgroup (compile time only)
; SGPRBlocks: 4
; VGPRBlocks: 2
; NumSGPRsForWavesPerEU: 40
; NumVGPRsForWavesPerEU: 12
; Occupancy: 10
; WaveLimiterHint : 1
; COMPUTE_PGM_RSRC2:SCRATCH_EN: 0
; COMPUTE_PGM_RSRC2:USER_SGPR: 6
; COMPUTE_PGM_RSRC2:TRAP_HANDLER: 0
; COMPUTE_PGM_RSRC2:TGID_X_EN: 1
; COMPUTE_PGM_RSRC2:TGID_Y_EN: 0
; COMPUTE_PGM_RSRC2:TGID_Z_EN: 0
; COMPUTE_PGM_RSRC2:TIDIG_COMP_CNT: 0
	.section	.text._ZN2at6native12_GLOBAL__N_131MultiMarginLoss_backward_kernelILi2EfEEvPT0_PKS3_S6_PKlS6_iibS3_b,"axG",@progbits,_ZN2at6native12_GLOBAL__N_131MultiMarginLoss_backward_kernelILi2EfEEvPT0_PKS3_S6_PKlS6_iibS3_b,comdat
	.globl	_ZN2at6native12_GLOBAL__N_131MultiMarginLoss_backward_kernelILi2EfEEvPT0_PKS3_S6_PKlS6_iibS3_b ; -- Begin function _ZN2at6native12_GLOBAL__N_131MultiMarginLoss_backward_kernelILi2EfEEvPT0_PKS3_S6_PKlS6_iibS3_b
	.p2align	8
	.type	_ZN2at6native12_GLOBAL__N_131MultiMarginLoss_backward_kernelILi2EfEEvPT0_PKS3_S6_PKlS6_iibS3_b,@function
_ZN2at6native12_GLOBAL__N_131MultiMarginLoss_backward_kernelILi2EfEEvPT0_PKS3_S6_PKlS6_iibS3_b: ; @_ZN2at6native12_GLOBAL__N_131MultiMarginLoss_backward_kernelILi2EfEEvPT0_PKS3_S6_PKlS6_iibS3_b
; %bb.0:
	s_load_dword s0, s[4:5], 0x38
	s_load_dwordx4 s[16:19], s[4:5], 0x28
	s_load_dwordx8 s[8:15], s[4:5], 0x0
	s_load_dword s24, s[4:5], 0x4c
	v_lshlrev_b32_e32 v1, 2, v0
	s_waitcnt lgkmcnt(0)
	s_bitcmp1_b32 s0, 0
	s_cselect_b64 s[22:23], -1, 0
	s_mul_i32 s20, s17, s6
	s_ashr_i32 s7, s6, 31
	s_ashr_i32 s21, s20, 31
	s_lshl_b64 s[0:1], s[6:7], 3
	s_add_u32 s0, s14, s0
	s_addc_u32 s1, s15, s1
	s_load_dwordx2 s[14:15], s[0:1], 0x0
	s_load_dwordx2 s[2:3], s[4:5], 0x20
	v_mov_b32_e32 v2, 0
	v_cmp_gt_i32_e64 s[0:1], s17, v0
	ds_write_b32 v1, v2
	s_waitcnt lgkmcnt(0)
	s_bfe_i64 s[4:5], s[14:15], 0x200000
	s_and_b32 s15, s24, 0xffff
	s_and_saveexec_b64 s[24:25], s[0:1]
	s_cbranch_execz .LBB11_9
; %bb.1:
	s_bitcmp1_b32 s18, 0
	s_cselect_b64 s[26:27], -1, 0
	s_lshl_b64 s[28:29], s[20:21], 2
	s_add_u32 s18, s12, s28
	s_addc_u32 s33, s13, s29
	s_lshl_b64 s[30:31], s[4:5], 2
	s_add_u32 s34, s18, s30
	s_addc_u32 s35, s33, s31
	s_and_b64 s[26:27], s[26:27], s[22:23]
	s_and_b64 s[26:27], s[26:27], exec
	s_cselect_b32 s16, s16, 1
	s_mul_i32 s16, s16, s17
	v_cvt_f32_i32_e32 v7, s16
	s_load_dword s18, s[34:35], 0x0
	s_cmp_lg_u64 s[2:3], 0
	s_cselect_b64 s[34:35], -1, 0
	v_div_scale_f32 v4, s[26:27], v7, v7, 1.0
	v_div_scale_f32 v5, vcc, 1.0, v7, 1.0
	s_mov_b64 s[26:27], 0
	v_mov_b32_e32 v3, 0
	v_rcp_f32_e32 v6, v4
	v_fma_f32 v8, -v4, v6, 1.0
	v_fmac_f32_e32 v6, v8, v6
	v_mul_f32_e32 v8, v5, v6
	v_fma_f32 v9, -v4, v8, v5
	v_fmac_f32_e32 v8, v9, v6
	v_fma_f32 v4, -v4, v8, v5
	v_div_fmas_f32 v8, v4, v6, v8
	v_add_co_u32_e32 v4, vcc, s28, v1
	s_add_u32 s28, s2, s30
	v_cndmask_b32_e64 v6, 0, 1, s[34:35]
	v_mov_b32_e32 v5, s29
	s_addc_u32 s29, s3, s31
	v_cmp_ne_u32_e64 s[2:3], 1, v6
	s_waitcnt lgkmcnt(0)
	v_mov_b32_e32 v6, s18
	v_addc_co_u32_e32 v5, vcc, 0, v5, vcc
	s_lshl_b32 s16, s15, 2
	v_sub_f32_e32 v6, s19, v6
	v_div_fixup_f32 v7, v8, v7, 1.0
	v_add_f32_e32 v7, v7, v7
	v_mov_b32_e32 v8, v0
	s_branch .LBB11_5
.LBB11_2:                               ;   in Loop: Header=BB11_5 Depth=1
	v_sub_f32_e32 v3, v3, v9
	ds_write_b32 v1, v3
.LBB11_3:                               ;   in Loop: Header=BB11_5 Depth=1
	s_or_b64 exec, exec, s[30:31]
	v_mov_b32_e32 v11, s9
	v_add_co_u32_e32 v10, vcc, s8, v4
	v_addc_co_u32_e32 v11, vcc, v11, v5, vcc
	global_store_dword v[10:11], v9, off
.LBB11_4:                               ;   in Loop: Header=BB11_5 Depth=1
	s_or_b64 exec, exec, s[18:19]
	v_add_u32_e32 v8, s15, v8
	v_cmp_le_i32_e32 vcc, s17, v8
	s_or_b64 s[26:27], vcc, s[26:27]
	v_add_co_u32_e32 v4, vcc, s16, v4
	v_addc_co_u32_e32 v5, vcc, 0, v5, vcc
	s_andn2_b64 exec, exec, s[26:27]
	s_cbranch_execz .LBB11_9
.LBB11_5:                               ; =>This Inner Loop Header: Depth=1
	v_cmp_ne_u32_e32 vcc, s14, v8
	s_and_saveexec_b64 s[18:19], vcc
	s_cbranch_execz .LBB11_4
; %bb.6:                                ;   in Loop: Header=BB11_5 Depth=1
	v_mov_b32_e32 v10, s13
	v_add_co_u32_e32 v9, vcc, s12, v4
	v_addc_co_u32_e32 v10, vcc, v10, v5, vcc
	global_load_dword v9, v[9:10], off
	s_waitcnt vmcnt(0)
	v_add_f32_e32 v10, v6, v9
	v_mov_b32_e32 v9, 0
	v_cmp_lt_f32_e32 vcc, 0, v10
	s_and_saveexec_b64 s[30:31], vcc
	s_cbranch_execz .LBB11_3
; %bb.7:                                ;   in Loop: Header=BB11_5 Depth=1
	s_and_b64 vcc, exec, s[2:3]
	v_mul_f32_e32 v9, v7, v10
	s_cbranch_vccnz .LBB11_2
; %bb.8:                                ;   in Loop: Header=BB11_5 Depth=1
	global_load_dword v10, v2, s[28:29]
	s_waitcnt vmcnt(0)
	v_mul_f32_e32 v9, v9, v10
	s_branch .LBB11_2
.LBB11_9:
	s_or_b64 exec, exec, s[24:25]
	v_cmp_eq_u32_e32 vcc, 0, v0
	s_waitcnt vmcnt(0) lgkmcnt(0)
	s_barrier
	s_and_saveexec_b64 s[2:3], vcc
	s_cbranch_execz .LBB11_20
; %bb.10:
	s_cmp_eq_u32 s15, 0
	s_cbranch_scc1 .LBB11_15
; %bb.11:
	s_cmp_lt_u32 s15, 8
	s_cbranch_scc1 .LBB11_16
; %bb.12:
	s_and_b32 s12, s15, 0xfff8
	s_mov_b32 s13, 0
	v_mov_b32_e32 v2, 0
	s_mov_b32 s14, 0
.LBB11_13:                              ; =>This Inner Loop Header: Depth=1
	v_mov_b32_e32 v7, s13
	ds_read_b128 v[3:6], v7
	ds_read_b128 v[7:10], v7 offset:16
	s_add_i32 s14, s14, 8
	s_add_i32 s13, s13, 32
	s_cmp_eq_u32 s12, s14
	s_waitcnt lgkmcnt(1)
	v_add_f32_e32 v2, v2, v3
	v_add_f32_e32 v2, v2, v4
	;; [unrolled: 1-line block ×4, first 2 shown]
	s_waitcnt lgkmcnt(0)
	v_add_f32_e32 v2, v2, v7
	v_add_f32_e32 v2, v2, v8
	;; [unrolled: 1-line block ×4, first 2 shown]
	s_cbranch_scc0 .LBB11_13
; %bb.14:
	s_and_b32 s13, s15, 7
	s_cmp_eq_u32 s13, 0
	s_cbranch_scc0 .LBB11_17
	s_branch .LBB11_19
.LBB11_15:
	v_mov_b32_e32 v2, 0
	s_branch .LBB11_19
.LBB11_16:
	s_mov_b32 s12, 0
	v_mov_b32_e32 v2, 0
	s_and_b32 s13, s15, 7
	s_cmp_eq_u32 s13, 0
	s_cbranch_scc1 .LBB11_19
.LBB11_17:
	s_lshl_b32 s12, s12, 2
.LBB11_18:                              ; =>This Inner Loop Header: Depth=1
	v_mov_b32_e32 v3, s12
	ds_read_b32 v3, v3
	s_add_i32 s12, s12, 4
	s_add_i32 s13, s13, -1
	s_cmp_lg_u32 s13, 0
	s_waitcnt lgkmcnt(0)
	v_add_f32_e32 v2, v2, v3
	s_cbranch_scc1 .LBB11_18
.LBB11_19:
	s_lshl_b64 s[12:13], s[20:21], 2
	s_add_u32 s12, s8, s12
	s_addc_u32 s13, s9, s13
	s_lshl_b64 s[4:5], s[4:5], 2
	s_add_u32 s4, s12, s4
	s_addc_u32 s5, s13, s5
	v_mov_b32_e32 v3, 0
	global_store_dword v3, v2, s[4:5]
.LBB11_20:
	s_or_b64 exec, exec, s[2:3]
	s_waitcnt vmcnt(0)
	s_barrier
	s_and_saveexec_b64 s[2:3], s[0:1]
	s_cbranch_execz .LBB11_23
; %bb.21:
	s_and_b64 s[0:1], s[22:23], exec
	s_cselect_b32 s1, 0, s7
	s_cselect_b32 s0, 0, s6
	s_lshl_b64 s[0:1], s[0:1], 2
	s_add_u32 s0, s10, s0
	s_addc_u32 s1, s11, s1
	s_lshl_b64 s[2:3], s[20:21], 2
	s_add_u32 s2, s8, s2
	s_addc_u32 s3, s9, s3
	v_mov_b32_e32 v2, s3
	v_add_co_u32_e32 v1, vcc, s2, v1
	v_mov_b32_e32 v3, 0
	v_addc_co_u32_e32 v2, vcc, 0, v2, vcc
	s_lshl_b32 s4, s15, 2
	s_mov_b64 s[2:3], 0
.LBB11_22:                              ; =>This Inner Loop Header: Depth=1
	global_load_dword v4, v3, s[0:1]
	global_load_dword v5, v[1:2], off
	v_add_u32_e32 v0, s15, v0
	v_cmp_le_i32_e32 vcc, s17, v0
	s_or_b64 s[2:3], vcc, s[2:3]
	s_waitcnt vmcnt(0)
	v_mul_f32_e32 v4, v4, v5
	global_store_dword v[1:2], v4, off
	v_add_co_u32_e32 v1, vcc, s4, v1
	v_addc_co_u32_e32 v2, vcc, 0, v2, vcc
	s_andn2_b64 exec, exec, s[2:3]
	s_cbranch_execnz .LBB11_22
.LBB11_23:
	s_endpgm
	.section	.rodata,"a",@progbits
	.p2align	6, 0x0
	.amdhsa_kernel _ZN2at6native12_GLOBAL__N_131MultiMarginLoss_backward_kernelILi2EfEEvPT0_PKS3_S6_PKlS6_iibS3_b
		.amdhsa_group_segment_fixed_size 512
		.amdhsa_private_segment_fixed_size 0
		.amdhsa_kernarg_size 320
		.amdhsa_user_sgpr_count 6
		.amdhsa_user_sgpr_private_segment_buffer 1
		.amdhsa_user_sgpr_dispatch_ptr 0
		.amdhsa_user_sgpr_queue_ptr 0
		.amdhsa_user_sgpr_kernarg_segment_ptr 1
		.amdhsa_user_sgpr_dispatch_id 0
		.amdhsa_user_sgpr_flat_scratch_init 0
		.amdhsa_user_sgpr_private_segment_size 0
		.amdhsa_uses_dynamic_stack 0
		.amdhsa_system_sgpr_private_segment_wavefront_offset 0
		.amdhsa_system_sgpr_workgroup_id_x 1
		.amdhsa_system_sgpr_workgroup_id_y 0
		.amdhsa_system_sgpr_workgroup_id_z 0
		.amdhsa_system_sgpr_workgroup_info 0
		.amdhsa_system_vgpr_workitem_id 0
		.amdhsa_next_free_vgpr 12
		.amdhsa_next_free_sgpr 36
		.amdhsa_reserve_vcc 1
		.amdhsa_reserve_flat_scratch 0
		.amdhsa_float_round_mode_32 0
		.amdhsa_float_round_mode_16_64 0
		.amdhsa_float_denorm_mode_32 3
		.amdhsa_float_denorm_mode_16_64 3
		.amdhsa_dx10_clamp 1
		.amdhsa_ieee_mode 1
		.amdhsa_fp16_overflow 0
		.amdhsa_exception_fp_ieee_invalid_op 0
		.amdhsa_exception_fp_denorm_src 0
		.amdhsa_exception_fp_ieee_div_zero 0
		.amdhsa_exception_fp_ieee_overflow 0
		.amdhsa_exception_fp_ieee_underflow 0
		.amdhsa_exception_fp_ieee_inexact 0
		.amdhsa_exception_int_div_zero 0
	.end_amdhsa_kernel
	.section	.text._ZN2at6native12_GLOBAL__N_131MultiMarginLoss_backward_kernelILi2EfEEvPT0_PKS3_S6_PKlS6_iibS3_b,"axG",@progbits,_ZN2at6native12_GLOBAL__N_131MultiMarginLoss_backward_kernelILi2EfEEvPT0_PKS3_S6_PKlS6_iibS3_b,comdat
.Lfunc_end11:
	.size	_ZN2at6native12_GLOBAL__N_131MultiMarginLoss_backward_kernelILi2EfEEvPT0_PKS3_S6_PKlS6_iibS3_b, .Lfunc_end11-_ZN2at6native12_GLOBAL__N_131MultiMarginLoss_backward_kernelILi2EfEEvPT0_PKS3_S6_PKlS6_iibS3_b
                                        ; -- End function
	.set _ZN2at6native12_GLOBAL__N_131MultiMarginLoss_backward_kernelILi2EfEEvPT0_PKS3_S6_PKlS6_iibS3_b.num_vgpr, 12
	.set _ZN2at6native12_GLOBAL__N_131MultiMarginLoss_backward_kernelILi2EfEEvPT0_PKS3_S6_PKlS6_iibS3_b.num_agpr, 0
	.set _ZN2at6native12_GLOBAL__N_131MultiMarginLoss_backward_kernelILi2EfEEvPT0_PKS3_S6_PKlS6_iibS3_b.numbered_sgpr, 36
	.set _ZN2at6native12_GLOBAL__N_131MultiMarginLoss_backward_kernelILi2EfEEvPT0_PKS3_S6_PKlS6_iibS3_b.num_named_barrier, 0
	.set _ZN2at6native12_GLOBAL__N_131MultiMarginLoss_backward_kernelILi2EfEEvPT0_PKS3_S6_PKlS6_iibS3_b.private_seg_size, 0
	.set _ZN2at6native12_GLOBAL__N_131MultiMarginLoss_backward_kernelILi2EfEEvPT0_PKS3_S6_PKlS6_iibS3_b.uses_vcc, 1
	.set _ZN2at6native12_GLOBAL__N_131MultiMarginLoss_backward_kernelILi2EfEEvPT0_PKS3_S6_PKlS6_iibS3_b.uses_flat_scratch, 0
	.set _ZN2at6native12_GLOBAL__N_131MultiMarginLoss_backward_kernelILi2EfEEvPT0_PKS3_S6_PKlS6_iibS3_b.has_dyn_sized_stack, 0
	.set _ZN2at6native12_GLOBAL__N_131MultiMarginLoss_backward_kernelILi2EfEEvPT0_PKS3_S6_PKlS6_iibS3_b.has_recursion, 0
	.set _ZN2at6native12_GLOBAL__N_131MultiMarginLoss_backward_kernelILi2EfEEvPT0_PKS3_S6_PKlS6_iibS3_b.has_indirect_call, 0
	.section	.AMDGPU.csdata,"",@progbits
; Kernel info:
; codeLenInByte = 904
; TotalNumSgprs: 40
; NumVgprs: 12
; ScratchSize: 0
; MemoryBound: 0
; FloatMode: 240
; IeeeMode: 1
; LDSByteSize: 512 bytes/workgroup (compile time only)
; SGPRBlocks: 4
; VGPRBlocks: 2
; NumSGPRsForWavesPerEU: 40
; NumVGPRsForWavesPerEU: 12
; Occupancy: 10
; WaveLimiterHint : 1
; COMPUTE_PGM_RSRC2:SCRATCH_EN: 0
; COMPUTE_PGM_RSRC2:USER_SGPR: 6
; COMPUTE_PGM_RSRC2:TRAP_HANDLER: 0
; COMPUTE_PGM_RSRC2:TGID_X_EN: 1
; COMPUTE_PGM_RSRC2:TGID_Y_EN: 0
; COMPUTE_PGM_RSRC2:TGID_Z_EN: 0
; COMPUTE_PGM_RSRC2:TIDIG_COMP_CNT: 0
	.section	.text._ZN2at6native12_GLOBAL__N_131MultiMarginLoss_backward_kernelILi1EN3c104HalfEEEvPT0_PKS5_S8_PKlS8_iibS5_b,"axG",@progbits,_ZN2at6native12_GLOBAL__N_131MultiMarginLoss_backward_kernelILi1EN3c104HalfEEEvPT0_PKS5_S8_PKlS8_iibS5_b,comdat
	.globl	_ZN2at6native12_GLOBAL__N_131MultiMarginLoss_backward_kernelILi1EN3c104HalfEEEvPT0_PKS5_S8_PKlS8_iibS5_b ; -- Begin function _ZN2at6native12_GLOBAL__N_131MultiMarginLoss_backward_kernelILi1EN3c104HalfEEEvPT0_PKS5_S8_PKlS8_iibS5_b
	.p2align	8
	.type	_ZN2at6native12_GLOBAL__N_131MultiMarginLoss_backward_kernelILi1EN3c104HalfEEEvPT0_PKS5_S8_PKlS8_iibS5_b,@function
_ZN2at6native12_GLOBAL__N_131MultiMarginLoss_backward_kernelILi1EN3c104HalfEEEvPT0_PKS5_S8_PKlS8_iibS5_b: ; @_ZN2at6native12_GLOBAL__N_131MultiMarginLoss_backward_kernelILi1EN3c104HalfEEEvPT0_PKS5_S8_PKlS8_iibS5_b
; %bb.0:
	s_load_dwordx2 s[26:27], s[4:5], 0x30
	s_load_dwordx4 s[16:19], s[4:5], 0x28
	s_load_dwordx8 s[8:15], s[4:5], 0x0
	s_waitcnt lgkmcnt(0)
	s_load_dword s19, s[4:5], 0x44
	v_lshlrev_b32_e32 v2, 2, v0
	s_bitcmp1_b32 s27, 0
	s_cselect_b64 s[22:23], -1, 0
	s_mul_i32 s20, s17, s6
	s_ashr_i32 s7, s6, 31
	s_ashr_i32 s21, s20, 31
	s_lshl_b64 s[0:1], s[6:7], 3
	s_add_u32 s0, s14, s0
	s_addc_u32 s1, s15, s1
	s_load_dwordx2 s[14:15], s[0:1], 0x0
	s_load_dwordx2 s[2:3], s[4:5], 0x20
	v_mov_b32_e32 v3, 0
	v_cmp_gt_i32_e64 s[0:1], s17, v0
	v_lshlrev_b32_e32 v1, 1, v0
	s_waitcnt lgkmcnt(0)
	s_bfe_i64 s[4:5], s[14:15], 0x200000
	s_and_b32 s15, s19, 0xffff
	ds_write_b32 v2, v3
	s_and_saveexec_b64 s[24:25], s[0:1]
	s_cbranch_execz .LBB12_11
; %bb.1:
	s_bitcmp1_b32 s18, 0
	s_cselect_b64 s[18:19], -1, 0
	s_lshr_b32 s33, s26, 16
	s_lshl_b64 s[26:27], s[20:21], 1
	s_add_u32 s30, s12, s26
	s_addc_u32 s31, s13, s27
	s_lshl_b64 s[28:29], s[4:5], 1
	s_add_u32 s30, s30, s28
	s_addc_u32 s31, s31, s29
	global_load_ushort v8, v3, s[30:31]
	s_and_b64 s[18:19], s[18:19], s[22:23]
	s_and_b64 s[18:19], s[18:19], exec
	s_cselect_b32 s16, s16, 1
	s_mul_i32 s16, s16, s17
	v_cvt_f32_i32_e32 v7, s16
	s_cmp_lg_u64 s[2:3], 0
	s_cselect_b64 s[30:31], -1, 0
	v_div_scale_f32 v4, s[18:19], v7, v7, 1.0
	v_div_scale_f32 v5, vcc, 1.0, v7, 1.0
	s_mov_b64 s[18:19], 0
	v_rcp_f32_e32 v6, v4
	v_fma_f32 v9, -v4, v6, 1.0
	v_fmac_f32_e32 v6, v9, v6
	v_mul_f32_e32 v9, v5, v6
	v_fma_f32 v10, -v4, v9, v5
	v_fmac_f32_e32 v9, v10, v6
	v_fma_f32 v4, -v4, v9, v5
	v_div_fmas_f32 v9, v4, v6, v9
	v_mov_b32_e32 v6, s27
	v_add_co_u32_e32 v5, vcc, s26, v1
	s_add_u32 s26, s2, s28
	v_cndmask_b32_e64 v10, 0, 1, s[30:31]
	v_mov_b32_e32 v4, 0
	v_addc_co_u32_e32 v6, vcc, 0, v6, vcc
	s_addc_u32 s27, s3, s29
	s_lshl_b32 s16, s15, 1
	v_cmp_ne_u32_e64 s[2:3], 1, v10
	v_div_fixup_f32 v7, v9, v7, 1.0
	v_mov_b32_e32 v9, v0
	s_waitcnt vmcnt(0)
	v_sub_f16_e32 v8, s33, v8
	s_branch .LBB12_5
.LBB12_2:                               ;   in Loop: Header=BB12_5 Depth=1
	v_cvt_f16_f32_e32 v12, v10
	v_mov_b32_e32 v11, s9
	v_add_co_u32_e32 v10, vcc, s8, v5
	v_cvt_f32_f16_e32 v13, v12
	v_addc_co_u32_e32 v11, vcc, v11, v6, vcc
	global_store_short v[10:11], v12, off
	v_sub_f32_e32 v4, v4, v13
	ds_write_b32 v2, v4
.LBB12_3:                               ;   in Loop: Header=BB12_5 Depth=1
	s_or_b64 exec, exec, s[30:31]
.LBB12_4:                               ;   in Loop: Header=BB12_5 Depth=1
	s_or_b64 exec, exec, s[28:29]
	v_add_u32_e32 v9, s15, v9
	v_cmp_le_i32_e32 vcc, s17, v9
	s_or_b64 s[18:19], vcc, s[18:19]
	v_add_co_u32_e32 v5, vcc, s16, v5
	v_addc_co_u32_e32 v6, vcc, 0, v6, vcc
	s_andn2_b64 exec, exec, s[18:19]
	s_cbranch_execz .LBB12_11
.LBB12_5:                               ; =>This Inner Loop Header: Depth=1
	v_cmp_ne_u32_e32 vcc, s14, v9
	s_and_saveexec_b64 s[28:29], vcc
	s_cbranch_execz .LBB12_4
; %bb.6:                                ;   in Loop: Header=BB12_5 Depth=1
	v_mov_b32_e32 v11, s13
	v_add_co_u32_e32 v10, vcc, s12, v5
	v_addc_co_u32_e32 v11, vcc, v11, v6, vcc
	global_load_ushort v10, v[10:11], off
	s_waitcnt vmcnt(0)
	v_add_f16_e32 v10, v8, v10
	v_cmp_nlt_f16_e32 vcc, 0, v10
	s_and_saveexec_b64 s[30:31], vcc
	s_xor_b64 s[30:31], exec, s[30:31]
	s_cbranch_execz .LBB12_8
; %bb.7:                                ;   in Loop: Header=BB12_5 Depth=1
	v_mov_b32_e32 v11, s9
	v_add_co_u32_e32 v10, vcc, s8, v5
	v_addc_co_u32_e32 v11, vcc, v11, v6, vcc
	global_store_short v[10:11], v3, off
.LBB12_8:                               ;   in Loop: Header=BB12_5 Depth=1
	s_andn2_saveexec_b64 s[30:31], s[30:31]
	s_cbranch_execz .LBB12_3
; %bb.9:                                ;   in Loop: Header=BB12_5 Depth=1
	s_and_b64 vcc, exec, s[2:3]
	v_mov_b32_e32 v10, v7
	s_cbranch_vccnz .LBB12_2
; %bb.10:                               ;   in Loop: Header=BB12_5 Depth=1
	global_load_ushort v10, v3, s[26:27]
	s_waitcnt vmcnt(0)
	v_cvt_f32_f16_e32 v10, v10
	v_mul_f32_e32 v10, v7, v10
	s_branch .LBB12_2
.LBB12_11:
	s_or_b64 exec, exec, s[24:25]
	v_cmp_eq_u32_e32 vcc, 0, v0
	s_waitcnt vmcnt(0) lgkmcnt(0)
	s_barrier
	s_and_saveexec_b64 s[2:3], vcc
	s_cbranch_execz .LBB12_23
; %bb.12:
	s_cmp_eq_u32 s15, 0
	s_cbranch_scc1 .LBB12_17
; %bb.13:
	s_cmp_lt_u32 s15, 8
	s_cbranch_scc1 .LBB12_18
; %bb.14:
	s_and_b32 s12, s15, 0xfff8
	s_mov_b32 s13, 0
	v_mov_b32_e32 v2, 0
	s_mov_b32 s14, 0
.LBB12_15:                              ; =>This Inner Loop Header: Depth=1
	v_mov_b32_e32 v7, s13
	ds_read_b128 v[3:6], v7
	ds_read_b128 v[7:10], v7 offset:16
	s_add_i32 s14, s14, 8
	s_add_i32 s13, s13, 32
	s_cmp_eq_u32 s12, s14
	s_waitcnt lgkmcnt(1)
	v_add_f32_e32 v2, v2, v3
	v_add_f32_e32 v2, v2, v4
	;; [unrolled: 1-line block ×4, first 2 shown]
	s_waitcnt lgkmcnt(0)
	v_add_f32_e32 v2, v2, v7
	v_add_f32_e32 v2, v2, v8
	;; [unrolled: 1-line block ×4, first 2 shown]
	s_cbranch_scc0 .LBB12_15
; %bb.16:
	s_and_b32 s13, s15, 7
	s_cmp_eq_u32 s13, 0
	s_cbranch_scc0 .LBB12_19
	s_branch .LBB12_21
.LBB12_17:
	v_mov_b32_e32 v2, 0
	s_branch .LBB12_22
.LBB12_18:
	s_mov_b32 s12, 0
	v_mov_b32_e32 v2, 0
	s_and_b32 s13, s15, 7
	s_cmp_eq_u32 s13, 0
	s_cbranch_scc1 .LBB12_21
.LBB12_19:
	s_lshl_b32 s12, s12, 2
.LBB12_20:                              ; =>This Inner Loop Header: Depth=1
	v_mov_b32_e32 v3, s12
	ds_read_b32 v3, v3
	s_add_i32 s12, s12, 4
	s_add_i32 s13, s13, -1
	s_cmp_lg_u32 s13, 0
	s_waitcnt lgkmcnt(0)
	v_add_f32_e32 v2, v2, v3
	s_cbranch_scc1 .LBB12_20
.LBB12_21:
	v_cvt_f16_f32_e32 v2, v2
.LBB12_22:
	s_lshl_b64 s[12:13], s[20:21], 1
	s_add_u32 s12, s8, s12
	s_addc_u32 s13, s9, s13
	s_lshl_b64 s[4:5], s[4:5], 1
	s_add_u32 s4, s12, s4
	s_addc_u32 s5, s13, s5
	v_mov_b32_e32 v3, 0
	global_store_short v3, v2, s[4:5]
.LBB12_23:
	s_or_b64 exec, exec, s[2:3]
	s_waitcnt vmcnt(0)
	s_barrier
	s_and_saveexec_b64 s[2:3], s[0:1]
	s_cbranch_execz .LBB12_26
; %bb.24:
	s_and_b64 s[0:1], s[22:23], exec
	s_cselect_b32 s1, 0, s7
	s_cselect_b32 s0, 0, s6
	s_lshl_b64 s[0:1], s[0:1], 1
	s_add_u32 s0, s10, s0
	s_addc_u32 s1, s11, s1
	s_lshl_b64 s[2:3], s[20:21], 1
	s_add_u32 s2, s8, s2
	s_addc_u32 s3, s9, s3
	v_mov_b32_e32 v2, s3
	v_add_co_u32_e32 v1, vcc, s2, v1
	v_mov_b32_e32 v3, 0
	v_addc_co_u32_e32 v2, vcc, 0, v2, vcc
	s_lshl_b32 s4, s15, 1
	s_mov_b64 s[2:3], 0
.LBB12_25:                              ; =>This Inner Loop Header: Depth=1
	global_load_ushort v4, v3, s[0:1]
	global_load_ushort v5, v[1:2], off
	v_add_u32_e32 v0, s15, v0
	v_cmp_le_i32_e32 vcc, s17, v0
	s_or_b64 s[2:3], vcc, s[2:3]
	s_waitcnt vmcnt(0)
	v_mul_f16_e32 v4, v4, v5
	global_store_short v[1:2], v4, off
	v_add_co_u32_e32 v1, vcc, s4, v1
	v_addc_co_u32_e32 v2, vcc, 0, v2, vcc
	s_andn2_b64 exec, exec, s[2:3]
	s_cbranch_execnz .LBB12_25
.LBB12_26:
	s_endpgm
	.section	.rodata,"a",@progbits
	.p2align	6, 0x0
	.amdhsa_kernel _ZN2at6native12_GLOBAL__N_131MultiMarginLoss_backward_kernelILi1EN3c104HalfEEEvPT0_PKS5_S8_PKlS8_iibS5_b
		.amdhsa_group_segment_fixed_size 512
		.amdhsa_private_segment_fixed_size 0
		.amdhsa_kernarg_size 312
		.amdhsa_user_sgpr_count 6
		.amdhsa_user_sgpr_private_segment_buffer 1
		.amdhsa_user_sgpr_dispatch_ptr 0
		.amdhsa_user_sgpr_queue_ptr 0
		.amdhsa_user_sgpr_kernarg_segment_ptr 1
		.amdhsa_user_sgpr_dispatch_id 0
		.amdhsa_user_sgpr_flat_scratch_init 0
		.amdhsa_user_sgpr_private_segment_size 0
		.amdhsa_uses_dynamic_stack 0
		.amdhsa_system_sgpr_private_segment_wavefront_offset 0
		.amdhsa_system_sgpr_workgroup_id_x 1
		.amdhsa_system_sgpr_workgroup_id_y 0
		.amdhsa_system_sgpr_workgroup_id_z 0
		.amdhsa_system_sgpr_workgroup_info 0
		.amdhsa_system_vgpr_workitem_id 0
		.amdhsa_next_free_vgpr 14
		.amdhsa_next_free_sgpr 34
		.amdhsa_reserve_vcc 1
		.amdhsa_reserve_flat_scratch 0
		.amdhsa_float_round_mode_32 0
		.amdhsa_float_round_mode_16_64 0
		.amdhsa_float_denorm_mode_32 3
		.amdhsa_float_denorm_mode_16_64 3
		.amdhsa_dx10_clamp 1
		.amdhsa_ieee_mode 1
		.amdhsa_fp16_overflow 0
		.amdhsa_exception_fp_ieee_invalid_op 0
		.amdhsa_exception_fp_denorm_src 0
		.amdhsa_exception_fp_ieee_div_zero 0
		.amdhsa_exception_fp_ieee_overflow 0
		.amdhsa_exception_fp_ieee_underflow 0
		.amdhsa_exception_fp_ieee_inexact 0
		.amdhsa_exception_int_div_zero 0
	.end_amdhsa_kernel
	.section	.text._ZN2at6native12_GLOBAL__N_131MultiMarginLoss_backward_kernelILi1EN3c104HalfEEEvPT0_PKS5_S8_PKlS8_iibS5_b,"axG",@progbits,_ZN2at6native12_GLOBAL__N_131MultiMarginLoss_backward_kernelILi1EN3c104HalfEEEvPT0_PKS5_S8_PKlS8_iibS5_b,comdat
.Lfunc_end12:
	.size	_ZN2at6native12_GLOBAL__N_131MultiMarginLoss_backward_kernelILi1EN3c104HalfEEEvPT0_PKS5_S8_PKlS8_iibS5_b, .Lfunc_end12-_ZN2at6native12_GLOBAL__N_131MultiMarginLoss_backward_kernelILi1EN3c104HalfEEEvPT0_PKS5_S8_PKlS8_iibS5_b
                                        ; -- End function
	.set _ZN2at6native12_GLOBAL__N_131MultiMarginLoss_backward_kernelILi1EN3c104HalfEEEvPT0_PKS5_S8_PKlS8_iibS5_b.num_vgpr, 14
	.set _ZN2at6native12_GLOBAL__N_131MultiMarginLoss_backward_kernelILi1EN3c104HalfEEEvPT0_PKS5_S8_PKlS8_iibS5_b.num_agpr, 0
	.set _ZN2at6native12_GLOBAL__N_131MultiMarginLoss_backward_kernelILi1EN3c104HalfEEEvPT0_PKS5_S8_PKlS8_iibS5_b.numbered_sgpr, 34
	.set _ZN2at6native12_GLOBAL__N_131MultiMarginLoss_backward_kernelILi1EN3c104HalfEEEvPT0_PKS5_S8_PKlS8_iibS5_b.num_named_barrier, 0
	.set _ZN2at6native12_GLOBAL__N_131MultiMarginLoss_backward_kernelILi1EN3c104HalfEEEvPT0_PKS5_S8_PKlS8_iibS5_b.private_seg_size, 0
	.set _ZN2at6native12_GLOBAL__N_131MultiMarginLoss_backward_kernelILi1EN3c104HalfEEEvPT0_PKS5_S8_PKlS8_iibS5_b.uses_vcc, 1
	.set _ZN2at6native12_GLOBAL__N_131MultiMarginLoss_backward_kernelILi1EN3c104HalfEEEvPT0_PKS5_S8_PKlS8_iibS5_b.uses_flat_scratch, 0
	.set _ZN2at6native12_GLOBAL__N_131MultiMarginLoss_backward_kernelILi1EN3c104HalfEEEvPT0_PKS5_S8_PKlS8_iibS5_b.has_dyn_sized_stack, 0
	.set _ZN2at6native12_GLOBAL__N_131MultiMarginLoss_backward_kernelILi1EN3c104HalfEEEvPT0_PKS5_S8_PKlS8_iibS5_b.has_recursion, 0
	.set _ZN2at6native12_GLOBAL__N_131MultiMarginLoss_backward_kernelILi1EN3c104HalfEEEvPT0_PKS5_S8_PKlS8_iibS5_b.has_indirect_call, 0
	.section	.AMDGPU.csdata,"",@progbits
; Kernel info:
; codeLenInByte = 948
; TotalNumSgprs: 38
; NumVgprs: 14
; ScratchSize: 0
; MemoryBound: 0
; FloatMode: 240
; IeeeMode: 1
; LDSByteSize: 512 bytes/workgroup (compile time only)
; SGPRBlocks: 4
; VGPRBlocks: 3
; NumSGPRsForWavesPerEU: 38
; NumVGPRsForWavesPerEU: 14
; Occupancy: 10
; WaveLimiterHint : 1
; COMPUTE_PGM_RSRC2:SCRATCH_EN: 0
; COMPUTE_PGM_RSRC2:USER_SGPR: 6
; COMPUTE_PGM_RSRC2:TRAP_HANDLER: 0
; COMPUTE_PGM_RSRC2:TGID_X_EN: 1
; COMPUTE_PGM_RSRC2:TGID_Y_EN: 0
; COMPUTE_PGM_RSRC2:TGID_Z_EN: 0
; COMPUTE_PGM_RSRC2:TIDIG_COMP_CNT: 0
	.section	.text._ZN2at6native12_GLOBAL__N_131MultiMarginLoss_backward_kernelILi2EN3c104HalfEEEvPT0_PKS5_S8_PKlS8_iibS5_b,"axG",@progbits,_ZN2at6native12_GLOBAL__N_131MultiMarginLoss_backward_kernelILi2EN3c104HalfEEEvPT0_PKS5_S8_PKlS8_iibS5_b,comdat
	.globl	_ZN2at6native12_GLOBAL__N_131MultiMarginLoss_backward_kernelILi2EN3c104HalfEEEvPT0_PKS5_S8_PKlS8_iibS5_b ; -- Begin function _ZN2at6native12_GLOBAL__N_131MultiMarginLoss_backward_kernelILi2EN3c104HalfEEEvPT0_PKS5_S8_PKlS8_iibS5_b
	.p2align	8
	.type	_ZN2at6native12_GLOBAL__N_131MultiMarginLoss_backward_kernelILi2EN3c104HalfEEEvPT0_PKS5_S8_PKlS8_iibS5_b,@function
_ZN2at6native12_GLOBAL__N_131MultiMarginLoss_backward_kernelILi2EN3c104HalfEEEvPT0_PKS5_S8_PKlS8_iibS5_b: ; @_ZN2at6native12_GLOBAL__N_131MultiMarginLoss_backward_kernelILi2EN3c104HalfEEEvPT0_PKS5_S8_PKlS8_iibS5_b
; %bb.0:
	s_load_dwordx2 s[26:27], s[4:5], 0x30
	s_load_dwordx4 s[16:19], s[4:5], 0x28
	s_load_dwordx8 s[8:15], s[4:5], 0x0
	s_waitcnt lgkmcnt(0)
	s_load_dword s19, s[4:5], 0x44
	v_lshlrev_b32_e32 v2, 2, v0
	s_bitcmp1_b32 s27, 0
	s_cselect_b64 s[22:23], -1, 0
	s_mul_i32 s20, s17, s6
	s_ashr_i32 s7, s6, 31
	s_ashr_i32 s21, s20, 31
	s_lshl_b64 s[0:1], s[6:7], 3
	s_add_u32 s0, s14, s0
	s_addc_u32 s1, s15, s1
	s_load_dwordx2 s[14:15], s[0:1], 0x0
	s_load_dwordx2 s[2:3], s[4:5], 0x20
	v_mov_b32_e32 v3, 0
	v_cmp_gt_i32_e64 s[0:1], s17, v0
	v_lshlrev_b32_e32 v1, 1, v0
	s_waitcnt lgkmcnt(0)
	s_bfe_i64 s[4:5], s[14:15], 0x200000
	s_and_b32 s15, s19, 0xffff
	ds_write_b32 v2, v3
	s_and_saveexec_b64 s[24:25], s[0:1]
	s_cbranch_execz .LBB13_11
; %bb.1:
	s_bitcmp1_b32 s18, 0
	s_cselect_b64 s[18:19], -1, 0
	s_lshr_b32 s33, s26, 16
	s_lshl_b64 s[26:27], s[20:21], 1
	s_add_u32 s30, s12, s26
	s_addc_u32 s31, s13, s27
	s_lshl_b64 s[28:29], s[4:5], 1
	s_add_u32 s30, s30, s28
	s_addc_u32 s31, s31, s29
	global_load_ushort v8, v3, s[30:31]
	s_and_b64 s[18:19], s[18:19], s[22:23]
	s_and_b64 s[18:19], s[18:19], exec
	s_cselect_b32 s16, s16, 1
	s_mul_i32 s16, s16, s17
	v_cvt_f32_i32_e32 v7, s16
	s_cmp_lg_u64 s[2:3], 0
	s_cselect_b64 s[30:31], -1, 0
	v_div_scale_f32 v4, s[18:19], v7, v7, 1.0
	v_div_scale_f32 v5, vcc, 1.0, v7, 1.0
	s_mov_b64 s[18:19], 0
	v_rcp_f32_e32 v6, v4
	v_fma_f32 v9, -v4, v6, 1.0
	v_fmac_f32_e32 v6, v9, v6
	v_mul_f32_e32 v9, v5, v6
	v_fma_f32 v10, -v4, v9, v5
	v_fmac_f32_e32 v9, v10, v6
	v_fma_f32 v4, -v4, v9, v5
	v_div_fmas_f32 v9, v4, v6, v9
	v_mov_b32_e32 v6, s27
	v_add_co_u32_e32 v5, vcc, s26, v1
	s_add_u32 s26, s2, s28
	v_cndmask_b32_e64 v10, 0, 1, s[30:31]
	v_mov_b32_e32 v4, 0
	v_addc_co_u32_e32 v6, vcc, 0, v6, vcc
	s_addc_u32 s27, s3, s29
	s_lshl_b32 s16, s15, 1
	v_cmp_ne_u32_e64 s[2:3], 1, v10
	v_div_fixup_f32 v7, v9, v7, 1.0
	v_add_f32_e32 v7, v7, v7
	v_mov_b32_e32 v9, v0
	s_waitcnt vmcnt(0)
	v_sub_f16_e32 v8, s33, v8
	s_branch .LBB13_5
.LBB13_2:                               ;   in Loop: Header=BB13_5 Depth=1
	v_cvt_f16_f32_e32 v12, v10
	v_mov_b32_e32 v11, s9
	v_add_co_u32_e32 v10, vcc, s8, v5
	v_cvt_f32_f16_e32 v13, v12
	v_addc_co_u32_e32 v11, vcc, v11, v6, vcc
	global_store_short v[10:11], v12, off
	v_sub_f32_e32 v4, v4, v13
	ds_write_b32 v2, v4
.LBB13_3:                               ;   in Loop: Header=BB13_5 Depth=1
	s_or_b64 exec, exec, s[30:31]
.LBB13_4:                               ;   in Loop: Header=BB13_5 Depth=1
	s_or_b64 exec, exec, s[28:29]
	v_add_u32_e32 v9, s15, v9
	v_cmp_le_i32_e32 vcc, s17, v9
	s_or_b64 s[18:19], vcc, s[18:19]
	v_add_co_u32_e32 v5, vcc, s16, v5
	v_addc_co_u32_e32 v6, vcc, 0, v6, vcc
	s_andn2_b64 exec, exec, s[18:19]
	s_cbranch_execz .LBB13_11
.LBB13_5:                               ; =>This Inner Loop Header: Depth=1
	v_cmp_ne_u32_e32 vcc, s14, v9
	s_and_saveexec_b64 s[28:29], vcc
	s_cbranch_execz .LBB13_4
; %bb.6:                                ;   in Loop: Header=BB13_5 Depth=1
	v_mov_b32_e32 v11, s13
	v_add_co_u32_e32 v10, vcc, s12, v5
	v_addc_co_u32_e32 v11, vcc, v11, v6, vcc
	global_load_ushort v10, v[10:11], off
	s_waitcnt vmcnt(0)
	v_add_f16_e32 v10, v8, v10
	v_cmp_nlt_f16_e32 vcc, 0, v10
	s_and_saveexec_b64 s[30:31], vcc
	s_xor_b64 s[30:31], exec, s[30:31]
	s_cbranch_execz .LBB13_8
; %bb.7:                                ;   in Loop: Header=BB13_5 Depth=1
	v_mov_b32_e32 v11, s9
	v_add_co_u32_e32 v10, vcc, s8, v5
	v_addc_co_u32_e32 v11, vcc, v11, v6, vcc
	global_store_short v[10:11], v3, off
                                        ; implicit-def: $vgpr10
.LBB13_8:                               ;   in Loop: Header=BB13_5 Depth=1
	s_andn2_saveexec_b64 s[30:31], s[30:31]
	s_cbranch_execz .LBB13_3
; %bb.9:                                ;   in Loop: Header=BB13_5 Depth=1
	v_cvt_f32_f16_e32 v10, v10
	s_and_b64 vcc, exec, s[2:3]
	v_mul_f32_e32 v10, v7, v10
	s_cbranch_vccnz .LBB13_2
; %bb.10:                               ;   in Loop: Header=BB13_5 Depth=1
	global_load_ushort v11, v3, s[26:27]
	s_waitcnt vmcnt(0)
	v_cvt_f32_f16_e32 v11, v11
	v_mul_f32_e32 v10, v10, v11
	s_branch .LBB13_2
.LBB13_11:
	s_or_b64 exec, exec, s[24:25]
	v_cmp_eq_u32_e32 vcc, 0, v0
	s_waitcnt vmcnt(0) lgkmcnt(0)
	s_barrier
	s_and_saveexec_b64 s[2:3], vcc
	s_cbranch_execz .LBB13_23
; %bb.12:
	s_cmp_eq_u32 s15, 0
	s_cbranch_scc1 .LBB13_17
; %bb.13:
	s_cmp_lt_u32 s15, 8
	s_cbranch_scc1 .LBB13_18
; %bb.14:
	s_and_b32 s12, s15, 0xfff8
	s_mov_b32 s13, 0
	v_mov_b32_e32 v2, 0
	s_mov_b32 s14, 0
.LBB13_15:                              ; =>This Inner Loop Header: Depth=1
	v_mov_b32_e32 v7, s13
	ds_read_b128 v[3:6], v7
	ds_read_b128 v[7:10], v7 offset:16
	s_add_i32 s14, s14, 8
	s_add_i32 s13, s13, 32
	s_cmp_eq_u32 s12, s14
	s_waitcnt lgkmcnt(1)
	v_add_f32_e32 v2, v2, v3
	v_add_f32_e32 v2, v2, v4
	;; [unrolled: 1-line block ×4, first 2 shown]
	s_waitcnt lgkmcnt(0)
	v_add_f32_e32 v2, v2, v7
	v_add_f32_e32 v2, v2, v8
	;; [unrolled: 1-line block ×4, first 2 shown]
	s_cbranch_scc0 .LBB13_15
; %bb.16:
	s_and_b32 s13, s15, 7
	s_cmp_eq_u32 s13, 0
	s_cbranch_scc0 .LBB13_19
	s_branch .LBB13_21
.LBB13_17:
	v_mov_b32_e32 v2, 0
	s_branch .LBB13_22
.LBB13_18:
	s_mov_b32 s12, 0
	v_mov_b32_e32 v2, 0
	s_and_b32 s13, s15, 7
	s_cmp_eq_u32 s13, 0
	s_cbranch_scc1 .LBB13_21
.LBB13_19:
	s_lshl_b32 s12, s12, 2
.LBB13_20:                              ; =>This Inner Loop Header: Depth=1
	v_mov_b32_e32 v3, s12
	ds_read_b32 v3, v3
	s_add_i32 s12, s12, 4
	s_add_i32 s13, s13, -1
	s_cmp_lg_u32 s13, 0
	s_waitcnt lgkmcnt(0)
	v_add_f32_e32 v2, v2, v3
	s_cbranch_scc1 .LBB13_20
.LBB13_21:
	v_cvt_f16_f32_e32 v2, v2
.LBB13_22:
	s_lshl_b64 s[12:13], s[20:21], 1
	s_add_u32 s12, s8, s12
	s_addc_u32 s13, s9, s13
	s_lshl_b64 s[4:5], s[4:5], 1
	s_add_u32 s4, s12, s4
	s_addc_u32 s5, s13, s5
	v_mov_b32_e32 v3, 0
	global_store_short v3, v2, s[4:5]
.LBB13_23:
	s_or_b64 exec, exec, s[2:3]
	s_waitcnt vmcnt(0)
	s_barrier
	s_and_saveexec_b64 s[2:3], s[0:1]
	s_cbranch_execz .LBB13_26
; %bb.24:
	s_and_b64 s[0:1], s[22:23], exec
	s_cselect_b32 s1, 0, s7
	s_cselect_b32 s0, 0, s6
	s_lshl_b64 s[0:1], s[0:1], 1
	s_add_u32 s0, s10, s0
	s_addc_u32 s1, s11, s1
	s_lshl_b64 s[2:3], s[20:21], 1
	s_add_u32 s2, s8, s2
	s_addc_u32 s3, s9, s3
	v_mov_b32_e32 v2, s3
	v_add_co_u32_e32 v1, vcc, s2, v1
	v_mov_b32_e32 v3, 0
	v_addc_co_u32_e32 v2, vcc, 0, v2, vcc
	s_lshl_b32 s4, s15, 1
	s_mov_b64 s[2:3], 0
.LBB13_25:                              ; =>This Inner Loop Header: Depth=1
	global_load_ushort v4, v3, s[0:1]
	global_load_ushort v5, v[1:2], off
	v_add_u32_e32 v0, s15, v0
	v_cmp_le_i32_e32 vcc, s17, v0
	s_or_b64 s[2:3], vcc, s[2:3]
	s_waitcnt vmcnt(0)
	v_mul_f16_e32 v4, v4, v5
	global_store_short v[1:2], v4, off
	v_add_co_u32_e32 v1, vcc, s4, v1
	v_addc_co_u32_e32 v2, vcc, 0, v2, vcc
	s_andn2_b64 exec, exec, s[2:3]
	s_cbranch_execnz .LBB13_25
.LBB13_26:
	s_endpgm
	.section	.rodata,"a",@progbits
	.p2align	6, 0x0
	.amdhsa_kernel _ZN2at6native12_GLOBAL__N_131MultiMarginLoss_backward_kernelILi2EN3c104HalfEEEvPT0_PKS5_S8_PKlS8_iibS5_b
		.amdhsa_group_segment_fixed_size 512
		.amdhsa_private_segment_fixed_size 0
		.amdhsa_kernarg_size 312
		.amdhsa_user_sgpr_count 6
		.amdhsa_user_sgpr_private_segment_buffer 1
		.amdhsa_user_sgpr_dispatch_ptr 0
		.amdhsa_user_sgpr_queue_ptr 0
		.amdhsa_user_sgpr_kernarg_segment_ptr 1
		.amdhsa_user_sgpr_dispatch_id 0
		.amdhsa_user_sgpr_flat_scratch_init 0
		.amdhsa_user_sgpr_private_segment_size 0
		.amdhsa_uses_dynamic_stack 0
		.amdhsa_system_sgpr_private_segment_wavefront_offset 0
		.amdhsa_system_sgpr_workgroup_id_x 1
		.amdhsa_system_sgpr_workgroup_id_y 0
		.amdhsa_system_sgpr_workgroup_id_z 0
		.amdhsa_system_sgpr_workgroup_info 0
		.amdhsa_system_vgpr_workitem_id 0
		.amdhsa_next_free_vgpr 14
		.amdhsa_next_free_sgpr 34
		.amdhsa_reserve_vcc 1
		.amdhsa_reserve_flat_scratch 0
		.amdhsa_float_round_mode_32 0
		.amdhsa_float_round_mode_16_64 0
		.amdhsa_float_denorm_mode_32 3
		.amdhsa_float_denorm_mode_16_64 3
		.amdhsa_dx10_clamp 1
		.amdhsa_ieee_mode 1
		.amdhsa_fp16_overflow 0
		.amdhsa_exception_fp_ieee_invalid_op 0
		.amdhsa_exception_fp_denorm_src 0
		.amdhsa_exception_fp_ieee_div_zero 0
		.amdhsa_exception_fp_ieee_overflow 0
		.amdhsa_exception_fp_ieee_underflow 0
		.amdhsa_exception_fp_ieee_inexact 0
		.amdhsa_exception_int_div_zero 0
	.end_amdhsa_kernel
	.section	.text._ZN2at6native12_GLOBAL__N_131MultiMarginLoss_backward_kernelILi2EN3c104HalfEEEvPT0_PKS5_S8_PKlS8_iibS5_b,"axG",@progbits,_ZN2at6native12_GLOBAL__N_131MultiMarginLoss_backward_kernelILi2EN3c104HalfEEEvPT0_PKS5_S8_PKlS8_iibS5_b,comdat
.Lfunc_end13:
	.size	_ZN2at6native12_GLOBAL__N_131MultiMarginLoss_backward_kernelILi2EN3c104HalfEEEvPT0_PKS5_S8_PKlS8_iibS5_b, .Lfunc_end13-_ZN2at6native12_GLOBAL__N_131MultiMarginLoss_backward_kernelILi2EN3c104HalfEEEvPT0_PKS5_S8_PKlS8_iibS5_b
                                        ; -- End function
	.set _ZN2at6native12_GLOBAL__N_131MultiMarginLoss_backward_kernelILi2EN3c104HalfEEEvPT0_PKS5_S8_PKlS8_iibS5_b.num_vgpr, 14
	.set _ZN2at6native12_GLOBAL__N_131MultiMarginLoss_backward_kernelILi2EN3c104HalfEEEvPT0_PKS5_S8_PKlS8_iibS5_b.num_agpr, 0
	.set _ZN2at6native12_GLOBAL__N_131MultiMarginLoss_backward_kernelILi2EN3c104HalfEEEvPT0_PKS5_S8_PKlS8_iibS5_b.numbered_sgpr, 34
	.set _ZN2at6native12_GLOBAL__N_131MultiMarginLoss_backward_kernelILi2EN3c104HalfEEEvPT0_PKS5_S8_PKlS8_iibS5_b.num_named_barrier, 0
	.set _ZN2at6native12_GLOBAL__N_131MultiMarginLoss_backward_kernelILi2EN3c104HalfEEEvPT0_PKS5_S8_PKlS8_iibS5_b.private_seg_size, 0
	.set _ZN2at6native12_GLOBAL__N_131MultiMarginLoss_backward_kernelILi2EN3c104HalfEEEvPT0_PKS5_S8_PKlS8_iibS5_b.uses_vcc, 1
	.set _ZN2at6native12_GLOBAL__N_131MultiMarginLoss_backward_kernelILi2EN3c104HalfEEEvPT0_PKS5_S8_PKlS8_iibS5_b.uses_flat_scratch, 0
	.set _ZN2at6native12_GLOBAL__N_131MultiMarginLoss_backward_kernelILi2EN3c104HalfEEEvPT0_PKS5_S8_PKlS8_iibS5_b.has_dyn_sized_stack, 0
	.set _ZN2at6native12_GLOBAL__N_131MultiMarginLoss_backward_kernelILi2EN3c104HalfEEEvPT0_PKS5_S8_PKlS8_iibS5_b.has_recursion, 0
	.set _ZN2at6native12_GLOBAL__N_131MultiMarginLoss_backward_kernelILi2EN3c104HalfEEEvPT0_PKS5_S8_PKlS8_iibS5_b.has_indirect_call, 0
	.section	.AMDGPU.csdata,"",@progbits
; Kernel info:
; codeLenInByte = 956
; TotalNumSgprs: 38
; NumVgprs: 14
; ScratchSize: 0
; MemoryBound: 0
; FloatMode: 240
; IeeeMode: 1
; LDSByteSize: 512 bytes/workgroup (compile time only)
; SGPRBlocks: 4
; VGPRBlocks: 3
; NumSGPRsForWavesPerEU: 38
; NumVGPRsForWavesPerEU: 14
; Occupancy: 10
; WaveLimiterHint : 1
; COMPUTE_PGM_RSRC2:SCRATCH_EN: 0
; COMPUTE_PGM_RSRC2:USER_SGPR: 6
; COMPUTE_PGM_RSRC2:TRAP_HANDLER: 0
; COMPUTE_PGM_RSRC2:TGID_X_EN: 1
; COMPUTE_PGM_RSRC2:TGID_Y_EN: 0
; COMPUTE_PGM_RSRC2:TGID_Z_EN: 0
; COMPUTE_PGM_RSRC2:TIDIG_COMP_CNT: 0
	.section	.text._ZN2at6native12_GLOBAL__N_131MultiMarginLoss_backward_kernelILi1EN3c108BFloat16EEEvPT0_PKS5_S8_PKlS8_iibS5_b,"axG",@progbits,_ZN2at6native12_GLOBAL__N_131MultiMarginLoss_backward_kernelILi1EN3c108BFloat16EEEvPT0_PKS5_S8_PKlS8_iibS5_b,comdat
	.globl	_ZN2at6native12_GLOBAL__N_131MultiMarginLoss_backward_kernelILi1EN3c108BFloat16EEEvPT0_PKS5_S8_PKlS8_iibS5_b ; -- Begin function _ZN2at6native12_GLOBAL__N_131MultiMarginLoss_backward_kernelILi1EN3c108BFloat16EEEvPT0_PKS5_S8_PKlS8_iibS5_b
	.p2align	8
	.type	_ZN2at6native12_GLOBAL__N_131MultiMarginLoss_backward_kernelILi1EN3c108BFloat16EEEvPT0_PKS5_S8_PKlS8_iibS5_b,@function
_ZN2at6native12_GLOBAL__N_131MultiMarginLoss_backward_kernelILi1EN3c108BFloat16EEEvPT0_PKS5_S8_PKlS8_iibS5_b: ; @_ZN2at6native12_GLOBAL__N_131MultiMarginLoss_backward_kernelILi1EN3c108BFloat16EEEvPT0_PKS5_S8_PKlS8_iibS5_b
; %bb.0:
	s_load_dwordx2 s[2:3], s[4:5], 0x30
	s_load_dwordx4 s[16:19], s[4:5], 0x28
	s_load_dwordx8 s[8:15], s[4:5], 0x0
	s_waitcnt lgkmcnt(0)
	s_load_dword s19, s[4:5], 0x44
	v_lshlrev_b32_e32 v2, 2, v0
	s_bitcmp1_b32 s3, 0
	s_cselect_b64 s[22:23], -1, 0
	s_mul_i32 s20, s17, s6
	s_ashr_i32 s7, s6, 31
	s_ashr_i32 s21, s20, 31
	s_lshl_b64 s[0:1], s[6:7], 3
	s_add_u32 s0, s14, s0
	s_addc_u32 s1, s15, s1
	s_load_dwordx2 s[24:25], s[0:1], 0x0
	s_load_dwordx2 s[28:29], s[4:5], 0x20
	v_mov_b32_e32 v3, 0
	v_cmp_gt_i32_e64 s[0:1], s17, v0
	v_lshlrev_b32_e32 v1, 1, v0
	s_waitcnt lgkmcnt(0)
	s_bfe_i64 s[14:15], s[24:25], 0x200000
	s_and_b32 s25, s19, 0xffff
	ds_write_b32 v2, v3
	s_and_saveexec_b64 s[26:27], s[0:1]
	s_cbranch_execz .LBB14_9
; %bb.1:
	s_bitcmp1_b32 s18, 0
	s_cselect_b64 s[4:5], -1, 0
	s_lshl_b64 s[30:31], s[20:21], 1
	s_add_u32 s3, s12, s30
	s_addc_u32 s19, s13, s31
	s_lshl_b64 s[34:35], s[14:15], 1
	s_add_u32 s18, s3, s34
	s_addc_u32 s19, s19, s35
	global_load_ushort v7, v3, s[18:19]
	s_and_b64 s[4:5], s[4:5], s[22:23]
	s_and_b64 s[4:5], s[4:5], exec
	s_cselect_b32 s3, s16, 1
	s_mul_i32 s3, s3, s17
	v_cvt_f32_i32_e32 v8, s3
	v_mov_b32_e32 v9, 0x7fc00000
	s_movk_i32 s16, 0x7fff
	s_mov_b64 s[18:19], 0
	v_div_scale_f32 v4, s[4:5], v8, v8, 1.0
	v_div_scale_f32 v5, vcc, 1.0, v8, 1.0
	s_and_b32 s4, s2, 0xffff0000
	s_cmp_lg_u64 s[28:29], 0
	s_cselect_b64 s[2:3], -1, 0
	s_add_u32 s28, s28, s34
	s_addc_u32 s29, s29, s35
	s_lshl_b32 s33, s25, 1
	v_rcp_f32_e32 v6, v4
	v_fma_f32 v10, -v4, v6, 1.0
	v_fmac_f32_e32 v6, v10, v6
	v_mul_f32_e32 v10, v5, v6
	v_fma_f32 v11, -v4, v10, v5
	v_fmac_f32_e32 v10, v11, v6
	v_fma_f32 v4, -v4, v10, v5
	v_div_fmas_f32 v10, v4, v6, v10
	v_mov_b32_e32 v6, s31
	v_add_co_u32_e32 v5, vcc, s30, v1
	v_addc_co_u32_e32 v6, vcc, 0, v6, vcc
	v_cndmask_b32_e64 v11, 0, 1, s[2:3]
	v_mov_b32_e32 v4, 0
	v_cmp_ne_u32_e64 s[2:3], 1, v11
	v_div_fixup_f32 v8, v10, v8, 1.0
	v_readfirstlane_b32 s34, v8
	s_waitcnt vmcnt(0)
	v_lshlrev_b32_e32 v7, 16, v7
	v_sub_f32_e32 v7, s4, v7
	v_bfe_u32 v8, v7, 16, 1
	v_add_u32_e32 v8, v7, v8
	v_add_u32_e32 v8, 0x7fff, v8
	v_and_b32_e32 v8, 0xffff0000, v8
	v_cmp_o_f32_e32 vcc, v7, v7
	v_cndmask_b32_e32 v7, v9, v8, vcc
	v_mov_b32_e32 v8, v0
	s_branch .LBB14_5
.LBB14_2:                               ;   in Loop: Header=BB14_5 Depth=1
	s_bfe_u32 s36, s35, 0x10010
	s_add_i32 s36, s35, s36
	s_addk_i32 s36, 0x7fff
	s_lshr_b32 s38, s36, 16
	v_cmp_o_f32_e64 s[36:37], s35, s35
	s_and_b64 s[36:37], s[36:37], exec
	s_cselect_b32 s35, s38, 0x7fc0
	s_lshl_b32 s36, s35, 16
	v_subrev_f32_e32 v4, s36, v4
	v_mov_b32_e32 v9, s35
	ds_write_b32 v2, v4
.LBB14_3:                               ;   in Loop: Header=BB14_5 Depth=1
	s_or_b64 exec, exec, s[4:5]
	v_mov_b32_e32 v11, s9
	v_add_co_u32_e32 v10, vcc, s8, v5
	v_addc_co_u32_e32 v11, vcc, v11, v6, vcc
	global_store_short v[10:11], v9, off
.LBB14_4:                               ;   in Loop: Header=BB14_5 Depth=1
	s_or_b64 exec, exec, s[30:31]
	v_add_u32_e32 v8, s25, v8
	v_cmp_le_i32_e32 vcc, s17, v8
	s_or_b64 s[18:19], vcc, s[18:19]
	v_add_co_u32_e32 v5, vcc, s33, v5
	v_addc_co_u32_e32 v6, vcc, 0, v6, vcc
	s_andn2_b64 exec, exec, s[18:19]
	s_cbranch_execz .LBB14_9
.LBB14_5:                               ; =>This Inner Loop Header: Depth=1
	v_cmp_ne_u32_e32 vcc, s24, v8
	s_and_saveexec_b64 s[30:31], vcc
	s_cbranch_execz .LBB14_4
; %bb.6:                                ;   in Loop: Header=BB14_5 Depth=1
	v_mov_b32_e32 v10, s13
	v_add_co_u32_e32 v9, vcc, s12, v5
	v_addc_co_u32_e32 v10, vcc, v10, v6, vcc
	global_load_ushort v9, v[9:10], off
	s_waitcnt vmcnt(0)
	v_lshlrev_b32_e32 v9, 16, v9
	v_add_f32_e32 v9, v7, v9
	v_bfe_u32 v10, v9, 16, 1
	v_cmp_o_f32_e32 vcc, v9, v9
	v_add3_u32 v9, v9, v10, s16
	v_and_b32_e32 v9, 0xffff0000, v9
	v_cmp_lt_f32_e64 s[4:5], 0, v9
	s_and_b64 s[36:37], vcc, s[4:5]
	v_mov_b32_e32 v9, 0
	s_and_saveexec_b64 s[4:5], s[36:37]
	s_cbranch_execz .LBB14_3
; %bb.7:                                ;   in Loop: Header=BB14_5 Depth=1
	s_and_b64 vcc, exec, s[2:3]
	s_mov_b32 s35, s34
	s_cbranch_vccnz .LBB14_2
; %bb.8:                                ;   in Loop: Header=BB14_5 Depth=1
	global_load_ushort v9, v3, s[28:29]
	s_waitcnt vmcnt(0)
	v_lshlrev_b32_e32 v9, 16, v9
	v_mul_f32_e32 v9, s34, v9
	v_readfirstlane_b32 s35, v9
	s_branch .LBB14_2
.LBB14_9:
	s_or_b64 exec, exec, s[26:27]
	v_cmp_eq_u32_e32 vcc, 0, v0
	s_waitcnt vmcnt(0) lgkmcnt(0)
	s_barrier
	s_and_saveexec_b64 s[2:3], vcc
	s_cbranch_execz .LBB14_20
; %bb.10:
	s_cmp_eq_u32 s25, 0
	s_cbranch_scc1 .LBB14_15
; %bb.11:
	s_cmp_lt_u32 s25, 8
	s_cbranch_scc1 .LBB14_16
; %bb.12:
	s_and_b32 s4, s25, 0xfff8
	s_mov_b32 s5, 0
	v_mov_b32_e32 v2, 0
	s_mov_b32 s12, 0
.LBB14_13:                              ; =>This Inner Loop Header: Depth=1
	v_mov_b32_e32 v7, s5
	ds_read_b128 v[3:6], v7
	ds_read_b128 v[7:10], v7 offset:16
	s_add_i32 s12, s12, 8
	s_add_i32 s5, s5, 32
	s_cmp_eq_u32 s4, s12
	s_waitcnt lgkmcnt(1)
	v_add_f32_e32 v2, v2, v3
	v_add_f32_e32 v2, v2, v4
	v_add_f32_e32 v2, v2, v5
	v_add_f32_e32 v2, v2, v6
	s_waitcnt lgkmcnt(0)
	v_add_f32_e32 v2, v2, v7
	v_add_f32_e32 v2, v2, v8
	;; [unrolled: 1-line block ×4, first 2 shown]
	s_cbranch_scc0 .LBB14_13
; %bb.14:
	s_and_b32 s5, s25, 7
	s_cmp_eq_u32 s5, 0
	s_cbranch_scc0 .LBB14_17
	s_branch .LBB14_19
.LBB14_15:
	v_mov_b32_e32 v2, 0
	s_branch .LBB14_19
.LBB14_16:
	s_mov_b32 s4, 0
	v_mov_b32_e32 v2, 0
	s_and_b32 s5, s25, 7
	s_cmp_eq_u32 s5, 0
	s_cbranch_scc1 .LBB14_19
.LBB14_17:
	s_lshl_b32 s4, s4, 2
.LBB14_18:                              ; =>This Inner Loop Header: Depth=1
	v_mov_b32_e32 v3, s4
	ds_read_b32 v3, v3
	s_add_i32 s4, s4, 4
	s_add_i32 s5, s5, -1
	s_cmp_lg_u32 s5, 0
	s_waitcnt lgkmcnt(0)
	v_add_f32_e32 v2, v2, v3
	s_cbranch_scc1 .LBB14_18
.LBB14_19:
	s_lshl_b64 s[4:5], s[20:21], 1
	s_add_u32 s12, s8, s4
	v_bfe_u32 v3, v2, 16, 1
	s_addc_u32 s13, s9, s5
	v_add_u32_e32 v3, v2, v3
	s_lshl_b64 s[4:5], s[14:15], 1
	v_add_u32_e32 v3, 0x7fff, v3
	v_cmp_o_f32_e32 vcc, v2, v2
	v_mov_b32_e32 v2, 0x7fc0
	s_add_u32 s4, s12, s4
	v_cndmask_b32_sdwa v2, v2, v3, vcc dst_sel:DWORD dst_unused:UNUSED_PAD src0_sel:DWORD src1_sel:WORD_1
	s_addc_u32 s5, s13, s5
	v_mov_b32_e32 v3, 0
	global_store_short v3, v2, s[4:5]
.LBB14_20:
	s_or_b64 exec, exec, s[2:3]
	s_waitcnt vmcnt(0)
	s_barrier
	s_and_saveexec_b64 s[2:3], s[0:1]
	s_cbranch_execz .LBB14_23
; %bb.21:
	s_and_b64 s[0:1], s[22:23], exec
	s_cselect_b32 s1, 0, s7
	s_cselect_b32 s0, 0, s6
	s_lshl_b64 s[0:1], s[0:1], 1
	s_add_u32 s0, s10, s0
	s_addc_u32 s1, s11, s1
	s_lshl_b64 s[2:3], s[20:21], 1
	s_add_u32 s2, s8, s2
	s_addc_u32 s3, s9, s3
	v_mov_b32_e32 v2, s3
	v_add_co_u32_e32 v1, vcc, s2, v1
	v_mov_b32_e32 v3, 0
	v_addc_co_u32_e32 v2, vcc, 0, v2, vcc
	s_lshl_b32 s4, s25, 1
	s_mov_b64 s[2:3], 0
	s_movk_i32 s5, 0x7fff
	v_mov_b32_e32 v4, 0x7fc0
.LBB14_22:                              ; =>This Inner Loop Header: Depth=1
	global_load_ushort v5, v[1:2], off
	global_load_ushort v6, v3, s[0:1]
	v_add_u32_e32 v0, s25, v0
	v_cmp_le_i32_e32 vcc, s17, v0
	s_or_b64 s[2:3], vcc, s[2:3]
	s_waitcnt vmcnt(1)
	v_lshlrev_b32_e32 v5, 16, v5
	s_waitcnt vmcnt(0)
	v_lshlrev_b32_e32 v6, 16, v6
	v_mul_f32_e32 v5, v6, v5
	v_bfe_u32 v6, v5, 16, 1
	v_cmp_o_f32_e32 vcc, v5, v5
	v_add3_u32 v5, v5, v6, s5
	v_cndmask_b32_sdwa v5, v4, v5, vcc dst_sel:DWORD dst_unused:UNUSED_PAD src0_sel:DWORD src1_sel:WORD_1
	global_store_short v[1:2], v5, off
	v_add_co_u32_e32 v1, vcc, s4, v1
	v_addc_co_u32_e32 v2, vcc, 0, v2, vcc
	s_andn2_b64 exec, exec, s[2:3]
	s_cbranch_execnz .LBB14_22
.LBB14_23:
	s_endpgm
	.section	.rodata,"a",@progbits
	.p2align	6, 0x0
	.amdhsa_kernel _ZN2at6native12_GLOBAL__N_131MultiMarginLoss_backward_kernelILi1EN3c108BFloat16EEEvPT0_PKS5_S8_PKlS8_iibS5_b
		.amdhsa_group_segment_fixed_size 512
		.amdhsa_private_segment_fixed_size 0
		.amdhsa_kernarg_size 312
		.amdhsa_user_sgpr_count 6
		.amdhsa_user_sgpr_private_segment_buffer 1
		.amdhsa_user_sgpr_dispatch_ptr 0
		.amdhsa_user_sgpr_queue_ptr 0
		.amdhsa_user_sgpr_kernarg_segment_ptr 1
		.amdhsa_user_sgpr_dispatch_id 0
		.amdhsa_user_sgpr_flat_scratch_init 0
		.amdhsa_user_sgpr_private_segment_size 0
		.amdhsa_uses_dynamic_stack 0
		.amdhsa_system_sgpr_private_segment_wavefront_offset 0
		.amdhsa_system_sgpr_workgroup_id_x 1
		.amdhsa_system_sgpr_workgroup_id_y 0
		.amdhsa_system_sgpr_workgroup_id_z 0
		.amdhsa_system_sgpr_workgroup_info 0
		.amdhsa_system_vgpr_workitem_id 0
		.amdhsa_next_free_vgpr 12
		.amdhsa_next_free_sgpr 39
		.amdhsa_reserve_vcc 1
		.amdhsa_reserve_flat_scratch 0
		.amdhsa_float_round_mode_32 0
		.amdhsa_float_round_mode_16_64 0
		.amdhsa_float_denorm_mode_32 3
		.amdhsa_float_denorm_mode_16_64 3
		.amdhsa_dx10_clamp 1
		.amdhsa_ieee_mode 1
		.amdhsa_fp16_overflow 0
		.amdhsa_exception_fp_ieee_invalid_op 0
		.amdhsa_exception_fp_denorm_src 0
		.amdhsa_exception_fp_ieee_div_zero 0
		.amdhsa_exception_fp_ieee_overflow 0
		.amdhsa_exception_fp_ieee_underflow 0
		.amdhsa_exception_fp_ieee_inexact 0
		.amdhsa_exception_int_div_zero 0
	.end_amdhsa_kernel
	.section	.text._ZN2at6native12_GLOBAL__N_131MultiMarginLoss_backward_kernelILi1EN3c108BFloat16EEEvPT0_PKS5_S8_PKlS8_iibS5_b,"axG",@progbits,_ZN2at6native12_GLOBAL__N_131MultiMarginLoss_backward_kernelILi1EN3c108BFloat16EEEvPT0_PKS5_S8_PKlS8_iibS5_b,comdat
.Lfunc_end14:
	.size	_ZN2at6native12_GLOBAL__N_131MultiMarginLoss_backward_kernelILi1EN3c108BFloat16EEEvPT0_PKS5_S8_PKlS8_iibS5_b, .Lfunc_end14-_ZN2at6native12_GLOBAL__N_131MultiMarginLoss_backward_kernelILi1EN3c108BFloat16EEEvPT0_PKS5_S8_PKlS8_iibS5_b
                                        ; -- End function
	.set _ZN2at6native12_GLOBAL__N_131MultiMarginLoss_backward_kernelILi1EN3c108BFloat16EEEvPT0_PKS5_S8_PKlS8_iibS5_b.num_vgpr, 12
	.set _ZN2at6native12_GLOBAL__N_131MultiMarginLoss_backward_kernelILi1EN3c108BFloat16EEEvPT0_PKS5_S8_PKlS8_iibS5_b.num_agpr, 0
	.set _ZN2at6native12_GLOBAL__N_131MultiMarginLoss_backward_kernelILi1EN3c108BFloat16EEEvPT0_PKS5_S8_PKlS8_iibS5_b.numbered_sgpr, 39
	.set _ZN2at6native12_GLOBAL__N_131MultiMarginLoss_backward_kernelILi1EN3c108BFloat16EEEvPT0_PKS5_S8_PKlS8_iibS5_b.num_named_barrier, 0
	.set _ZN2at6native12_GLOBAL__N_131MultiMarginLoss_backward_kernelILi1EN3c108BFloat16EEEvPT0_PKS5_S8_PKlS8_iibS5_b.private_seg_size, 0
	.set _ZN2at6native12_GLOBAL__N_131MultiMarginLoss_backward_kernelILi1EN3c108BFloat16EEEvPT0_PKS5_S8_PKlS8_iibS5_b.uses_vcc, 1
	.set _ZN2at6native12_GLOBAL__N_131MultiMarginLoss_backward_kernelILi1EN3c108BFloat16EEEvPT0_PKS5_S8_PKlS8_iibS5_b.uses_flat_scratch, 0
	.set _ZN2at6native12_GLOBAL__N_131MultiMarginLoss_backward_kernelILi1EN3c108BFloat16EEEvPT0_PKS5_S8_PKlS8_iibS5_b.has_dyn_sized_stack, 0
	.set _ZN2at6native12_GLOBAL__N_131MultiMarginLoss_backward_kernelILi1EN3c108BFloat16EEEvPT0_PKS5_S8_PKlS8_iibS5_b.has_recursion, 0
	.set _ZN2at6native12_GLOBAL__N_131MultiMarginLoss_backward_kernelILi1EN3c108BFloat16EEEvPT0_PKS5_S8_PKlS8_iibS5_b.has_indirect_call, 0
	.section	.AMDGPU.csdata,"",@progbits
; Kernel info:
; codeLenInByte = 1152
; TotalNumSgprs: 43
; NumVgprs: 12
; ScratchSize: 0
; MemoryBound: 0
; FloatMode: 240
; IeeeMode: 1
; LDSByteSize: 512 bytes/workgroup (compile time only)
; SGPRBlocks: 5
; VGPRBlocks: 2
; NumSGPRsForWavesPerEU: 43
; NumVGPRsForWavesPerEU: 12
; Occupancy: 10
; WaveLimiterHint : 1
; COMPUTE_PGM_RSRC2:SCRATCH_EN: 0
; COMPUTE_PGM_RSRC2:USER_SGPR: 6
; COMPUTE_PGM_RSRC2:TRAP_HANDLER: 0
; COMPUTE_PGM_RSRC2:TGID_X_EN: 1
; COMPUTE_PGM_RSRC2:TGID_Y_EN: 0
; COMPUTE_PGM_RSRC2:TGID_Z_EN: 0
; COMPUTE_PGM_RSRC2:TIDIG_COMP_CNT: 0
	.section	.text._ZN2at6native12_GLOBAL__N_131MultiMarginLoss_backward_kernelILi2EN3c108BFloat16EEEvPT0_PKS5_S8_PKlS8_iibS5_b,"axG",@progbits,_ZN2at6native12_GLOBAL__N_131MultiMarginLoss_backward_kernelILi2EN3c108BFloat16EEEvPT0_PKS5_S8_PKlS8_iibS5_b,comdat
	.globl	_ZN2at6native12_GLOBAL__N_131MultiMarginLoss_backward_kernelILi2EN3c108BFloat16EEEvPT0_PKS5_S8_PKlS8_iibS5_b ; -- Begin function _ZN2at6native12_GLOBAL__N_131MultiMarginLoss_backward_kernelILi2EN3c108BFloat16EEEvPT0_PKS5_S8_PKlS8_iibS5_b
	.p2align	8
	.type	_ZN2at6native12_GLOBAL__N_131MultiMarginLoss_backward_kernelILi2EN3c108BFloat16EEEvPT0_PKS5_S8_PKlS8_iibS5_b,@function
_ZN2at6native12_GLOBAL__N_131MultiMarginLoss_backward_kernelILi2EN3c108BFloat16EEEvPT0_PKS5_S8_PKlS8_iibS5_b: ; @_ZN2at6native12_GLOBAL__N_131MultiMarginLoss_backward_kernelILi2EN3c108BFloat16EEEvPT0_PKS5_S8_PKlS8_iibS5_b
; %bb.0:
	s_load_dwordx2 s[2:3], s[4:5], 0x30
	s_load_dwordx4 s[16:19], s[4:5], 0x28
	s_load_dwordx8 s[8:15], s[4:5], 0x0
	s_waitcnt lgkmcnt(0)
	s_load_dword s19, s[4:5], 0x44
	v_lshlrev_b32_e32 v2, 2, v0
	s_bitcmp1_b32 s3, 0
	s_cselect_b64 s[22:23], -1, 0
	s_mul_i32 s20, s17, s6
	s_ashr_i32 s7, s6, 31
	s_ashr_i32 s21, s20, 31
	s_lshl_b64 s[0:1], s[6:7], 3
	s_add_u32 s0, s14, s0
	s_addc_u32 s1, s15, s1
	s_load_dwordx2 s[14:15], s[0:1], 0x0
	s_load_dwordx2 s[26:27], s[4:5], 0x20
	v_mov_b32_e32 v3, 0
	v_cmp_gt_i32_e64 s[0:1], s17, v0
	v_lshlrev_b32_e32 v1, 1, v0
	s_waitcnt lgkmcnt(0)
	s_bfe_i64 s[4:5], s[14:15], 0x200000
	s_and_b32 s15, s19, 0xffff
	ds_write_b32 v2, v3
	s_and_saveexec_b64 s[24:25], s[0:1]
	s_cbranch_execz .LBB15_9
; %bb.1:
	s_bitcmp1_b32 s18, 0
	s_cselect_b64 s[18:19], -1, 0
	s_lshl_b64 s[28:29], s[20:21], 1
	s_add_u32 s3, s12, s28
	s_addc_u32 s33, s13, s29
	s_lshl_b64 s[30:31], s[4:5], 1
	s_add_u32 s34, s3, s30
	s_addc_u32 s35, s33, s31
	global_load_ushort v10, v3, s[34:35]
	s_and_b64 s[18:19], s[18:19], s[22:23]
	s_and_b64 s[18:19], s[18:19], exec
	s_cselect_b32 s3, s16, 1
	s_mul_i32 s3, s3, s17
	v_cvt_f32_i32_e32 v9, s3
	v_mov_b32_e32 v4, 0x7fc00000
	s_movk_i32 s16, 0x7fff
	v_div_scale_f32 v5, s[18:19], v9, v9, 1.0
	v_div_scale_f32 v6, vcc, 1.0, v9, 1.0
	s_mov_b64 s[18:19], 0
	v_rcp_f32_e32 v7, v5
	v_fma_f32 v8, -v5, v7, 1.0
	v_fmac_f32_e32 v7, v8, v7
	v_mul_f32_e32 v8, v6, v7
	v_fma_f32 v11, -v5, v8, v6
	v_fmac_f32_e32 v8, v11, v7
	v_fma_f32 v5, -v5, v8, v6
	v_div_fmas_f32 v11, v5, v7, v8
	v_add_co_u32_e32 v7, vcc, s28, v1
	s_and_b32 s28, s2, 0xffff0000
	v_mov_b32_e32 v8, s29
	s_cmp_lg_u64 s[26:27], 0
	v_addc_co_u32_e32 v8, vcc, 0, v8, vcc
	s_cselect_b64 s[2:3], -1, 0
	s_add_u32 s26, s26, s30
	v_cndmask_b32_e64 v12, 0, 1, s[2:3]
	v_mov_b32_e32 v5, 0x7fc0
	v_mov_b32_e32 v6, 0
	s_addc_u32 s27, s27, s31
	s_lshl_b32 s33, s15, 1
	v_cmp_ne_u32_e64 s[2:3], 1, v12
	v_div_fixup_f32 v9, v11, v9, 1.0
	v_add_f32_e32 v9, v9, v9
	s_waitcnt vmcnt(0)
	v_lshlrev_b32_e32 v10, 16, v10
	v_sub_f32_e32 v10, s28, v10
	v_bfe_u32 v11, v10, 16, 1
	v_add_u32_e32 v11, v10, v11
	v_add_u32_e32 v11, 0x7fff, v11
	v_and_b32_e32 v11, 0xffff0000, v11
	v_cmp_o_f32_e32 vcc, v10, v10
	v_cndmask_b32_e32 v10, v4, v11, vcc
	v_mov_b32_e32 v11, v0
	s_branch .LBB15_5
.LBB15_2:                               ;   in Loop: Header=BB15_5 Depth=1
	v_bfe_u32 v13, v12, 16, 1
	v_add3_u32 v13, v12, v13, s16
	v_cmp_o_f32_e32 vcc, v12, v12
	v_cndmask_b32_sdwa v12, v5, v13, vcc dst_sel:DWORD dst_unused:UNUSED_PAD src0_sel:DWORD src1_sel:WORD_1
	v_lshlrev_b32_e32 v13, 16, v12
	v_sub_f32_e32 v6, v6, v13
	ds_write_b32 v2, v6
.LBB15_3:                               ;   in Loop: Header=BB15_5 Depth=1
	s_or_b64 exec, exec, s[30:31]
	v_mov_b32_e32 v14, s9
	v_add_co_u32_e32 v13, vcc, s8, v7
	v_addc_co_u32_e32 v14, vcc, v14, v8, vcc
	global_store_short v[13:14], v12, off
.LBB15_4:                               ;   in Loop: Header=BB15_5 Depth=1
	s_or_b64 exec, exec, s[28:29]
	v_add_u32_e32 v11, s15, v11
	v_cmp_le_i32_e32 vcc, s17, v11
	s_or_b64 s[18:19], vcc, s[18:19]
	v_add_co_u32_e32 v7, vcc, s33, v7
	v_addc_co_u32_e32 v8, vcc, 0, v8, vcc
	s_andn2_b64 exec, exec, s[18:19]
	s_cbranch_execz .LBB15_9
.LBB15_5:                               ; =>This Inner Loop Header: Depth=1
	v_cmp_ne_u32_e32 vcc, s14, v11
	s_and_saveexec_b64 s[28:29], vcc
	s_cbranch_execz .LBB15_4
; %bb.6:                                ;   in Loop: Header=BB15_5 Depth=1
	v_mov_b32_e32 v13, s13
	v_add_co_u32_e32 v12, vcc, s12, v7
	v_addc_co_u32_e32 v13, vcc, v13, v8, vcc
	global_load_ushort v12, v[12:13], off
	s_waitcnt vmcnt(0)
	v_lshlrev_b32_e32 v12, 16, v12
	v_add_f32_e32 v12, v10, v12
	v_bfe_u32 v13, v12, 16, 1
	v_add3_u32 v13, v12, v13, s16
	v_and_b32_e32 v13, 0xffff0000, v13
	v_cmp_o_f32_e32 vcc, v12, v12
	v_cndmask_b32_e32 v13, v4, v13, vcc
	v_cmp_lt_f32_e32 vcc, 0, v13
	v_mov_b32_e32 v12, 0
	s_and_saveexec_b64 s[30:31], vcc
	s_cbranch_execz .LBB15_3
; %bb.7:                                ;   in Loop: Header=BB15_5 Depth=1
	s_and_b64 vcc, exec, s[2:3]
	v_mul_f32_e32 v12, v9, v13
	s_cbranch_vccnz .LBB15_2
; %bb.8:                                ;   in Loop: Header=BB15_5 Depth=1
	global_load_ushort v13, v3, s[26:27]
	s_waitcnt vmcnt(0)
	v_lshlrev_b32_e32 v13, 16, v13
	v_mul_f32_e32 v12, v12, v13
	s_branch .LBB15_2
.LBB15_9:
	s_or_b64 exec, exec, s[24:25]
	v_cmp_eq_u32_e32 vcc, 0, v0
	s_waitcnt vmcnt(0) lgkmcnt(0)
	s_barrier
	s_and_saveexec_b64 s[2:3], vcc
	s_cbranch_execz .LBB15_20
; %bb.10:
	s_cmp_eq_u32 s15, 0
	s_cbranch_scc1 .LBB15_15
; %bb.11:
	s_cmp_lt_u32 s15, 8
	s_cbranch_scc1 .LBB15_16
; %bb.12:
	s_and_b32 s12, s15, 0xfff8
	s_mov_b32 s13, 0
	v_mov_b32_e32 v2, 0
	s_mov_b32 s14, 0
.LBB15_13:                              ; =>This Inner Loop Header: Depth=1
	v_mov_b32_e32 v7, s13
	ds_read_b128 v[3:6], v7
	ds_read_b128 v[7:10], v7 offset:16
	s_add_i32 s14, s14, 8
	s_add_i32 s13, s13, 32
	s_cmp_eq_u32 s12, s14
	s_waitcnt lgkmcnt(1)
	v_add_f32_e32 v2, v2, v3
	v_add_f32_e32 v2, v2, v4
	;; [unrolled: 1-line block ×4, first 2 shown]
	s_waitcnt lgkmcnt(0)
	v_add_f32_e32 v2, v2, v7
	v_add_f32_e32 v2, v2, v8
	;; [unrolled: 1-line block ×4, first 2 shown]
	s_cbranch_scc0 .LBB15_13
; %bb.14:
	s_and_b32 s13, s15, 7
	s_cmp_eq_u32 s13, 0
	s_cbranch_scc0 .LBB15_17
	s_branch .LBB15_19
.LBB15_15:
	v_mov_b32_e32 v2, 0
	s_branch .LBB15_19
.LBB15_16:
	s_mov_b32 s12, 0
	v_mov_b32_e32 v2, 0
	s_and_b32 s13, s15, 7
	s_cmp_eq_u32 s13, 0
	s_cbranch_scc1 .LBB15_19
.LBB15_17:
	s_lshl_b32 s12, s12, 2
.LBB15_18:                              ; =>This Inner Loop Header: Depth=1
	v_mov_b32_e32 v3, s12
	ds_read_b32 v3, v3
	s_add_i32 s12, s12, 4
	s_add_i32 s13, s13, -1
	s_cmp_lg_u32 s13, 0
	s_waitcnt lgkmcnt(0)
	v_add_f32_e32 v2, v2, v3
	s_cbranch_scc1 .LBB15_18
.LBB15_19:
	s_lshl_b64 s[12:13], s[20:21], 1
	s_add_u32 s12, s8, s12
	v_bfe_u32 v3, v2, 16, 1
	s_addc_u32 s13, s9, s13
	v_add_u32_e32 v3, v2, v3
	s_lshl_b64 s[4:5], s[4:5], 1
	v_add_u32_e32 v3, 0x7fff, v3
	v_cmp_o_f32_e32 vcc, v2, v2
	v_mov_b32_e32 v2, 0x7fc0
	s_add_u32 s4, s12, s4
	v_cndmask_b32_sdwa v2, v2, v3, vcc dst_sel:DWORD dst_unused:UNUSED_PAD src0_sel:DWORD src1_sel:WORD_1
	s_addc_u32 s5, s13, s5
	v_mov_b32_e32 v3, 0
	global_store_short v3, v2, s[4:5]
.LBB15_20:
	s_or_b64 exec, exec, s[2:3]
	s_waitcnt vmcnt(0)
	s_barrier
	s_and_saveexec_b64 s[2:3], s[0:1]
	s_cbranch_execz .LBB15_23
; %bb.21:
	s_and_b64 s[0:1], s[22:23], exec
	s_cselect_b32 s1, 0, s7
	s_cselect_b32 s0, 0, s6
	s_lshl_b64 s[0:1], s[0:1], 1
	s_add_u32 s0, s10, s0
	s_addc_u32 s1, s11, s1
	s_lshl_b64 s[2:3], s[20:21], 1
	s_add_u32 s2, s8, s2
	s_addc_u32 s3, s9, s3
	v_mov_b32_e32 v2, s3
	v_add_co_u32_e32 v1, vcc, s2, v1
	v_mov_b32_e32 v3, 0
	v_addc_co_u32_e32 v2, vcc, 0, v2, vcc
	s_lshl_b32 s4, s15, 1
	s_mov_b64 s[2:3], 0
	s_movk_i32 s5, 0x7fff
	v_mov_b32_e32 v4, 0x7fc0
.LBB15_22:                              ; =>This Inner Loop Header: Depth=1
	global_load_ushort v5, v[1:2], off
	global_load_ushort v6, v3, s[0:1]
	v_add_u32_e32 v0, s15, v0
	v_cmp_le_i32_e32 vcc, s17, v0
	s_or_b64 s[2:3], vcc, s[2:3]
	s_waitcnt vmcnt(1)
	v_lshlrev_b32_e32 v5, 16, v5
	s_waitcnt vmcnt(0)
	v_lshlrev_b32_e32 v6, 16, v6
	v_mul_f32_e32 v5, v6, v5
	v_bfe_u32 v6, v5, 16, 1
	v_cmp_o_f32_e32 vcc, v5, v5
	v_add3_u32 v5, v5, v6, s5
	v_cndmask_b32_sdwa v5, v4, v5, vcc dst_sel:DWORD dst_unused:UNUSED_PAD src0_sel:DWORD src1_sel:WORD_1
	global_store_short v[1:2], v5, off
	v_add_co_u32_e32 v1, vcc, s4, v1
	v_addc_co_u32_e32 v2, vcc, 0, v2, vcc
	s_andn2_b64 exec, exec, s[2:3]
	s_cbranch_execnz .LBB15_22
.LBB15_23:
	s_endpgm
	.section	.rodata,"a",@progbits
	.p2align	6, 0x0
	.amdhsa_kernel _ZN2at6native12_GLOBAL__N_131MultiMarginLoss_backward_kernelILi2EN3c108BFloat16EEEvPT0_PKS5_S8_PKlS8_iibS5_b
		.amdhsa_group_segment_fixed_size 512
		.amdhsa_private_segment_fixed_size 0
		.amdhsa_kernarg_size 312
		.amdhsa_user_sgpr_count 6
		.amdhsa_user_sgpr_private_segment_buffer 1
		.amdhsa_user_sgpr_dispatch_ptr 0
		.amdhsa_user_sgpr_queue_ptr 0
		.amdhsa_user_sgpr_kernarg_segment_ptr 1
		.amdhsa_user_sgpr_dispatch_id 0
		.amdhsa_user_sgpr_flat_scratch_init 0
		.amdhsa_user_sgpr_private_segment_size 0
		.amdhsa_uses_dynamic_stack 0
		.amdhsa_system_sgpr_private_segment_wavefront_offset 0
		.amdhsa_system_sgpr_workgroup_id_x 1
		.amdhsa_system_sgpr_workgroup_id_y 0
		.amdhsa_system_sgpr_workgroup_id_z 0
		.amdhsa_system_sgpr_workgroup_info 0
		.amdhsa_system_vgpr_workitem_id 0
		.amdhsa_next_free_vgpr 15
		.amdhsa_next_free_sgpr 36
		.amdhsa_reserve_vcc 1
		.amdhsa_reserve_flat_scratch 0
		.amdhsa_float_round_mode_32 0
		.amdhsa_float_round_mode_16_64 0
		.amdhsa_float_denorm_mode_32 3
		.amdhsa_float_denorm_mode_16_64 3
		.amdhsa_dx10_clamp 1
		.amdhsa_ieee_mode 1
		.amdhsa_fp16_overflow 0
		.amdhsa_exception_fp_ieee_invalid_op 0
		.amdhsa_exception_fp_denorm_src 0
		.amdhsa_exception_fp_ieee_div_zero 0
		.amdhsa_exception_fp_ieee_overflow 0
		.amdhsa_exception_fp_ieee_underflow 0
		.amdhsa_exception_fp_ieee_inexact 0
		.amdhsa_exception_int_div_zero 0
	.end_amdhsa_kernel
	.section	.text._ZN2at6native12_GLOBAL__N_131MultiMarginLoss_backward_kernelILi2EN3c108BFloat16EEEvPT0_PKS5_S8_PKlS8_iibS5_b,"axG",@progbits,_ZN2at6native12_GLOBAL__N_131MultiMarginLoss_backward_kernelILi2EN3c108BFloat16EEEvPT0_PKS5_S8_PKlS8_iibS5_b,comdat
.Lfunc_end15:
	.size	_ZN2at6native12_GLOBAL__N_131MultiMarginLoss_backward_kernelILi2EN3c108BFloat16EEEvPT0_PKS5_S8_PKlS8_iibS5_b, .Lfunc_end15-_ZN2at6native12_GLOBAL__N_131MultiMarginLoss_backward_kernelILi2EN3c108BFloat16EEEvPT0_PKS5_S8_PKlS8_iibS5_b
                                        ; -- End function
	.set _ZN2at6native12_GLOBAL__N_131MultiMarginLoss_backward_kernelILi2EN3c108BFloat16EEEvPT0_PKS5_S8_PKlS8_iibS5_b.num_vgpr, 15
	.set _ZN2at6native12_GLOBAL__N_131MultiMarginLoss_backward_kernelILi2EN3c108BFloat16EEEvPT0_PKS5_S8_PKlS8_iibS5_b.num_agpr, 0
	.set _ZN2at6native12_GLOBAL__N_131MultiMarginLoss_backward_kernelILi2EN3c108BFloat16EEEvPT0_PKS5_S8_PKlS8_iibS5_b.numbered_sgpr, 36
	.set _ZN2at6native12_GLOBAL__N_131MultiMarginLoss_backward_kernelILi2EN3c108BFloat16EEEvPT0_PKS5_S8_PKlS8_iibS5_b.num_named_barrier, 0
	.set _ZN2at6native12_GLOBAL__N_131MultiMarginLoss_backward_kernelILi2EN3c108BFloat16EEEvPT0_PKS5_S8_PKlS8_iibS5_b.private_seg_size, 0
	.set _ZN2at6native12_GLOBAL__N_131MultiMarginLoss_backward_kernelILi2EN3c108BFloat16EEEvPT0_PKS5_S8_PKlS8_iibS5_b.uses_vcc, 1
	.set _ZN2at6native12_GLOBAL__N_131MultiMarginLoss_backward_kernelILi2EN3c108BFloat16EEEvPT0_PKS5_S8_PKlS8_iibS5_b.uses_flat_scratch, 0
	.set _ZN2at6native12_GLOBAL__N_131MultiMarginLoss_backward_kernelILi2EN3c108BFloat16EEEvPT0_PKS5_S8_PKlS8_iibS5_b.has_dyn_sized_stack, 0
	.set _ZN2at6native12_GLOBAL__N_131MultiMarginLoss_backward_kernelILi2EN3c108BFloat16EEEvPT0_PKS5_S8_PKlS8_iibS5_b.has_recursion, 0
	.set _ZN2at6native12_GLOBAL__N_131MultiMarginLoss_backward_kernelILi2EN3c108BFloat16EEEvPT0_PKS5_S8_PKlS8_iibS5_b.has_indirect_call, 0
	.section	.AMDGPU.csdata,"",@progbits
; Kernel info:
; codeLenInByte = 1136
; TotalNumSgprs: 40
; NumVgprs: 15
; ScratchSize: 0
; MemoryBound: 0
; FloatMode: 240
; IeeeMode: 1
; LDSByteSize: 512 bytes/workgroup (compile time only)
; SGPRBlocks: 4
; VGPRBlocks: 3
; NumSGPRsForWavesPerEU: 40
; NumVGPRsForWavesPerEU: 15
; Occupancy: 10
; WaveLimiterHint : 1
; COMPUTE_PGM_RSRC2:SCRATCH_EN: 0
; COMPUTE_PGM_RSRC2:USER_SGPR: 6
; COMPUTE_PGM_RSRC2:TRAP_HANDLER: 0
; COMPUTE_PGM_RSRC2:TGID_X_EN: 1
; COMPUTE_PGM_RSRC2:TGID_Y_EN: 0
; COMPUTE_PGM_RSRC2:TGID_Z_EN: 0
; COMPUTE_PGM_RSRC2:TIDIG_COMP_CNT: 0
	.section	.AMDGPU.gpr_maximums,"",@progbits
	.set amdgpu.max_num_vgpr, 0
	.set amdgpu.max_num_agpr, 0
	.set amdgpu.max_num_sgpr, 0
	.section	.AMDGPU.csdata,"",@progbits
	.type	.str,@object                    ; @.str
	.section	.rodata.str1.1,"aMS",@progbits,1
.str:
	.asciz	"target index is out of bounds"
	.size	.str, 30

	.type	__hip_cuid_64942c5147b8b0a1,@object ; @__hip_cuid_64942c5147b8b0a1
	.section	.bss,"aw",@nobits
	.globl	__hip_cuid_64942c5147b8b0a1
__hip_cuid_64942c5147b8b0a1:
	.byte	0                               ; 0x0
	.size	__hip_cuid_64942c5147b8b0a1, 1

	.ident	"AMD clang version 22.0.0git (https://github.com/RadeonOpenCompute/llvm-project roc-7.2.4 26084 f58b06dce1f9c15707c5f808fd002e18c2accf7e)"
	.section	".note.GNU-stack","",@progbits
	.addrsig
	.addrsig_sym __hip_cuid_64942c5147b8b0a1
	.amdgpu_metadata
---
amdhsa.kernels:
  - .args:
      - .address_space:  global
        .offset:         0
        .size:           8
        .value_kind:     global_buffer
      - .address_space:  global
        .offset:         8
        .size:           8
        .value_kind:     global_buffer
      - .address_space:  global
        .offset:         16
        .size:           8
        .value_kind:     global_buffer
      - .address_space:  global
        .offset:         24
        .size:           8
        .value_kind:     global_buffer
      - .offset:         32
        .size:           4
        .value_kind:     by_value
      - .offset:         36
        .size:           4
        .value_kind:     by_value
      - .offset:         40
        .size:           1
        .value_kind:     by_value
      - .offset:         48
        .size:           8
        .value_kind:     by_value
      - .offset:         56
        .size:           4
        .value_kind:     hidden_block_count_x
      - .offset:         60
        .size:           4
        .value_kind:     hidden_block_count_y
      - .offset:         64
        .size:           4
        .value_kind:     hidden_block_count_z
      - .offset:         68
        .size:           2
        .value_kind:     hidden_group_size_x
      - .offset:         70
        .size:           2
        .value_kind:     hidden_group_size_y
      - .offset:         72
        .size:           2
        .value_kind:     hidden_group_size_z
      - .offset:         74
        .size:           2
        .value_kind:     hidden_remainder_x
      - .offset:         76
        .size:           2
        .value_kind:     hidden_remainder_y
      - .offset:         78
        .size:           2
        .value_kind:     hidden_remainder_z
      - .offset:         96
        .size:           8
        .value_kind:     hidden_global_offset_x
      - .offset:         104
        .size:           8
        .value_kind:     hidden_global_offset_y
      - .offset:         112
        .size:           8
        .value_kind:     hidden_global_offset_z
      - .offset:         120
        .size:           2
        .value_kind:     hidden_grid_dims
    .group_segment_fixed_size: 1024
    .kernarg_segment_align: 8
    .kernarg_segment_size: 312
    .language:       OpenCL C
    .language_version:
      - 2
      - 0
    .max_flat_workgroup_size: 1024
    .name:           _ZN2at6native12_GLOBAL__N_130MultiMarginLoss_forward_kernelILi1EdEEvPT0_PKS3_PKlS6_iibS3_
    .private_segment_fixed_size: 0
    .sgpr_count:     32
    .sgpr_spill_count: 0
    .symbol:         _ZN2at6native12_GLOBAL__N_130MultiMarginLoss_forward_kernelILi1EdEEvPT0_PKS3_PKlS6_iibS3_.kd
    .uniform_work_group_size: 1
    .uses_dynamic_stack: false
    .vgpr_count:     12
    .vgpr_spill_count: 0
    .wavefront_size: 64
  - .args:
      - .address_space:  global
        .offset:         0
        .size:           8
        .value_kind:     global_buffer
      - .address_space:  global
        .offset:         8
        .size:           8
        .value_kind:     global_buffer
      - .address_space:  global
        .offset:         16
        .size:           8
        .value_kind:     global_buffer
      - .address_space:  global
        .offset:         24
        .size:           8
        .value_kind:     global_buffer
      - .offset:         32
        .size:           4
        .value_kind:     by_value
      - .offset:         36
        .size:           4
        .value_kind:     by_value
      - .offset:         40
        .size:           1
        .value_kind:     by_value
      - .offset:         48
        .size:           8
        .value_kind:     by_value
      - .offset:         56
        .size:           4
        .value_kind:     hidden_block_count_x
      - .offset:         60
        .size:           4
        .value_kind:     hidden_block_count_y
      - .offset:         64
        .size:           4
        .value_kind:     hidden_block_count_z
      - .offset:         68
        .size:           2
        .value_kind:     hidden_group_size_x
      - .offset:         70
        .size:           2
        .value_kind:     hidden_group_size_y
      - .offset:         72
        .size:           2
        .value_kind:     hidden_group_size_z
      - .offset:         74
        .size:           2
        .value_kind:     hidden_remainder_x
      - .offset:         76
        .size:           2
        .value_kind:     hidden_remainder_y
      - .offset:         78
        .size:           2
        .value_kind:     hidden_remainder_z
      - .offset:         96
        .size:           8
        .value_kind:     hidden_global_offset_x
      - .offset:         104
        .size:           8
        .value_kind:     hidden_global_offset_y
      - .offset:         112
        .size:           8
        .value_kind:     hidden_global_offset_z
      - .offset:         120
        .size:           2
        .value_kind:     hidden_grid_dims
    .group_segment_fixed_size: 1024
    .kernarg_segment_align: 8
    .kernarg_segment_size: 312
    .language:       OpenCL C
    .language_version:
      - 2
      - 0
    .max_flat_workgroup_size: 1024
    .name:           _ZN2at6native12_GLOBAL__N_130MultiMarginLoss_forward_kernelILi2EdEEvPT0_PKS3_PKlS6_iibS3_
    .private_segment_fixed_size: 0
    .sgpr_count:     32
    .sgpr_spill_count: 0
    .symbol:         _ZN2at6native12_GLOBAL__N_130MultiMarginLoss_forward_kernelILi2EdEEvPT0_PKS3_PKlS6_iibS3_.kd
    .uniform_work_group_size: 1
    .uses_dynamic_stack: false
    .vgpr_count:     12
    .vgpr_spill_count: 0
    .wavefront_size: 64
  - .args:
      - .address_space:  global
        .offset:         0
        .size:           8
        .value_kind:     global_buffer
      - .address_space:  global
        .offset:         8
        .size:           8
        .value_kind:     global_buffer
      - .address_space:  global
        .offset:         16
        .size:           8
        .value_kind:     global_buffer
      - .address_space:  global
        .offset:         24
        .size:           8
        .value_kind:     global_buffer
      - .offset:         32
        .size:           4
        .value_kind:     by_value
      - .offset:         36
        .size:           4
        .value_kind:     by_value
      - .offset:         40
        .size:           1
        .value_kind:     by_value
      - .offset:         44
        .size:           4
        .value_kind:     by_value
      - .offset:         48
        .size:           4
        .value_kind:     hidden_block_count_x
      - .offset:         52
        .size:           4
        .value_kind:     hidden_block_count_y
      - .offset:         56
        .size:           4
        .value_kind:     hidden_block_count_z
      - .offset:         60
        .size:           2
        .value_kind:     hidden_group_size_x
      - .offset:         62
        .size:           2
        .value_kind:     hidden_group_size_y
      - .offset:         64
        .size:           2
        .value_kind:     hidden_group_size_z
      - .offset:         66
        .size:           2
        .value_kind:     hidden_remainder_x
      - .offset:         68
        .size:           2
        .value_kind:     hidden_remainder_y
      - .offset:         70
        .size:           2
        .value_kind:     hidden_remainder_z
      - .offset:         88
        .size:           8
        .value_kind:     hidden_global_offset_x
      - .offset:         96
        .size:           8
        .value_kind:     hidden_global_offset_y
      - .offset:         104
        .size:           8
        .value_kind:     hidden_global_offset_z
      - .offset:         112
        .size:           2
        .value_kind:     hidden_grid_dims
    .group_segment_fixed_size: 512
    .kernarg_segment_align: 8
    .kernarg_segment_size: 304
    .language:       OpenCL C
    .language_version:
      - 2
      - 0
    .max_flat_workgroup_size: 1024
    .name:           _ZN2at6native12_GLOBAL__N_130MultiMarginLoss_forward_kernelILi1EfEEvPT0_PKS3_PKlS6_iibS3_
    .private_segment_fixed_size: 0
    .sgpr_count:     30
    .sgpr_spill_count: 0
    .symbol:         _ZN2at6native12_GLOBAL__N_130MultiMarginLoss_forward_kernelILi1EfEEvPT0_PKS3_PKlS6_iibS3_.kd
    .uniform_work_group_size: 1
    .uses_dynamic_stack: false
    .vgpr_count:     9
    .vgpr_spill_count: 0
    .wavefront_size: 64
  - .args:
      - .address_space:  global
        .offset:         0
        .size:           8
        .value_kind:     global_buffer
      - .address_space:  global
        .offset:         8
        .size:           8
        .value_kind:     global_buffer
      - .address_space:  global
        .offset:         16
        .size:           8
        .value_kind:     global_buffer
      - .address_space:  global
        .offset:         24
        .size:           8
        .value_kind:     global_buffer
      - .offset:         32
        .size:           4
        .value_kind:     by_value
      - .offset:         36
        .size:           4
        .value_kind:     by_value
      - .offset:         40
        .size:           1
        .value_kind:     by_value
      - .offset:         44
        .size:           4
        .value_kind:     by_value
      - .offset:         48
        .size:           4
        .value_kind:     hidden_block_count_x
      - .offset:         52
        .size:           4
        .value_kind:     hidden_block_count_y
      - .offset:         56
        .size:           4
        .value_kind:     hidden_block_count_z
      - .offset:         60
        .size:           2
        .value_kind:     hidden_group_size_x
      - .offset:         62
        .size:           2
        .value_kind:     hidden_group_size_y
      - .offset:         64
        .size:           2
        .value_kind:     hidden_group_size_z
      - .offset:         66
        .size:           2
        .value_kind:     hidden_remainder_x
      - .offset:         68
        .size:           2
        .value_kind:     hidden_remainder_y
      - .offset:         70
        .size:           2
        .value_kind:     hidden_remainder_z
      - .offset:         88
        .size:           8
        .value_kind:     hidden_global_offset_x
      - .offset:         96
        .size:           8
        .value_kind:     hidden_global_offset_y
      - .offset:         104
        .size:           8
        .value_kind:     hidden_global_offset_z
      - .offset:         112
        .size:           2
        .value_kind:     hidden_grid_dims
    .group_segment_fixed_size: 512
    .kernarg_segment_align: 8
    .kernarg_segment_size: 304
    .language:       OpenCL C
    .language_version:
      - 2
      - 0
    .max_flat_workgroup_size: 1024
    .name:           _ZN2at6native12_GLOBAL__N_130MultiMarginLoss_forward_kernelILi2EfEEvPT0_PKS3_PKlS6_iibS3_
    .private_segment_fixed_size: 0
    .sgpr_count:     30
    .sgpr_spill_count: 0
    .symbol:         _ZN2at6native12_GLOBAL__N_130MultiMarginLoss_forward_kernelILi2EfEEvPT0_PKS3_PKlS6_iibS3_.kd
    .uniform_work_group_size: 1
    .uses_dynamic_stack: false
    .vgpr_count:     9
    .vgpr_spill_count: 0
    .wavefront_size: 64
  - .args:
      - .address_space:  global
        .offset:         0
        .size:           8
        .value_kind:     global_buffer
      - .address_space:  global
        .offset:         8
        .size:           8
        .value_kind:     global_buffer
      - .address_space:  global
        .offset:         16
        .size:           8
        .value_kind:     global_buffer
      - .address_space:  global
        .offset:         24
        .size:           8
        .value_kind:     global_buffer
      - .offset:         32
        .size:           4
        .value_kind:     by_value
      - .offset:         36
        .size:           4
        .value_kind:     by_value
      - .offset:         40
        .size:           1
        .value_kind:     by_value
      - .offset:         42
        .size:           2
        .value_kind:     by_value
      - .offset:         48
        .size:           4
        .value_kind:     hidden_block_count_x
      - .offset:         52
        .size:           4
        .value_kind:     hidden_block_count_y
      - .offset:         56
        .size:           4
        .value_kind:     hidden_block_count_z
      - .offset:         60
        .size:           2
        .value_kind:     hidden_group_size_x
      - .offset:         62
        .size:           2
        .value_kind:     hidden_group_size_y
      - .offset:         64
        .size:           2
        .value_kind:     hidden_group_size_z
      - .offset:         66
        .size:           2
        .value_kind:     hidden_remainder_x
      - .offset:         68
        .size:           2
        .value_kind:     hidden_remainder_y
      - .offset:         70
        .size:           2
        .value_kind:     hidden_remainder_z
      - .offset:         88
        .size:           8
        .value_kind:     hidden_global_offset_x
      - .offset:         96
        .size:           8
        .value_kind:     hidden_global_offset_y
      - .offset:         104
        .size:           8
        .value_kind:     hidden_global_offset_z
      - .offset:         112
        .size:           2
        .value_kind:     hidden_grid_dims
    .group_segment_fixed_size: 512
    .kernarg_segment_align: 8
    .kernarg_segment_size: 304
    .language:       OpenCL C
    .language_version:
      - 2
      - 0
    .max_flat_workgroup_size: 1024
    .name:           _ZN2at6native12_GLOBAL__N_130MultiMarginLoss_forward_kernelILi1EN3c104HalfEEEvPT0_PKS5_PKlS8_iibS5_
    .private_segment_fixed_size: 0
    .sgpr_count:     30
    .sgpr_spill_count: 0
    .symbol:         _ZN2at6native12_GLOBAL__N_130MultiMarginLoss_forward_kernelILi1EN3c104HalfEEEvPT0_PKS5_PKlS8_iibS5_.kd
    .uniform_work_group_size: 1
    .uses_dynamic_stack: false
    .vgpr_count:     10
    .vgpr_spill_count: 0
    .wavefront_size: 64
  - .args:
      - .address_space:  global
        .offset:         0
        .size:           8
        .value_kind:     global_buffer
      - .address_space:  global
        .offset:         8
        .size:           8
        .value_kind:     global_buffer
      - .address_space:  global
        .offset:         16
        .size:           8
        .value_kind:     global_buffer
      - .address_space:  global
        .offset:         24
        .size:           8
        .value_kind:     global_buffer
      - .offset:         32
        .size:           4
        .value_kind:     by_value
      - .offset:         36
        .size:           4
        .value_kind:     by_value
      - .offset:         40
        .size:           1
        .value_kind:     by_value
      - .offset:         42
        .size:           2
        .value_kind:     by_value
      - .offset:         48
        .size:           4
        .value_kind:     hidden_block_count_x
      - .offset:         52
        .size:           4
        .value_kind:     hidden_block_count_y
      - .offset:         56
        .size:           4
        .value_kind:     hidden_block_count_z
      - .offset:         60
        .size:           2
        .value_kind:     hidden_group_size_x
      - .offset:         62
        .size:           2
        .value_kind:     hidden_group_size_y
      - .offset:         64
        .size:           2
        .value_kind:     hidden_group_size_z
      - .offset:         66
        .size:           2
        .value_kind:     hidden_remainder_x
      - .offset:         68
        .size:           2
        .value_kind:     hidden_remainder_y
      - .offset:         70
        .size:           2
        .value_kind:     hidden_remainder_z
      - .offset:         88
        .size:           8
        .value_kind:     hidden_global_offset_x
      - .offset:         96
        .size:           8
        .value_kind:     hidden_global_offset_y
      - .offset:         104
        .size:           8
        .value_kind:     hidden_global_offset_z
      - .offset:         112
        .size:           2
        .value_kind:     hidden_grid_dims
    .group_segment_fixed_size: 512
    .kernarg_segment_align: 8
    .kernarg_segment_size: 304
    .language:       OpenCL C
    .language_version:
      - 2
      - 0
    .max_flat_workgroup_size: 1024
    .name:           _ZN2at6native12_GLOBAL__N_130MultiMarginLoss_forward_kernelILi2EN3c104HalfEEEvPT0_PKS5_PKlS8_iibS5_
    .private_segment_fixed_size: 0
    .sgpr_count:     30
    .sgpr_spill_count: 0
    .symbol:         _ZN2at6native12_GLOBAL__N_130MultiMarginLoss_forward_kernelILi2EN3c104HalfEEEvPT0_PKS5_PKlS8_iibS5_.kd
    .uniform_work_group_size: 1
    .uses_dynamic_stack: false
    .vgpr_count:     10
    .vgpr_spill_count: 0
    .wavefront_size: 64
  - .args:
      - .address_space:  global
        .offset:         0
        .size:           8
        .value_kind:     global_buffer
      - .address_space:  global
        .offset:         8
        .size:           8
        .value_kind:     global_buffer
      - .address_space:  global
        .offset:         16
        .size:           8
        .value_kind:     global_buffer
      - .address_space:  global
        .offset:         24
        .size:           8
        .value_kind:     global_buffer
      - .offset:         32
        .size:           4
        .value_kind:     by_value
      - .offset:         36
        .size:           4
        .value_kind:     by_value
      - .offset:         40
        .size:           1
        .value_kind:     by_value
      - .offset:         42
        .size:           2
        .value_kind:     by_value
      - .offset:         48
        .size:           4
        .value_kind:     hidden_block_count_x
      - .offset:         52
        .size:           4
        .value_kind:     hidden_block_count_y
      - .offset:         56
        .size:           4
        .value_kind:     hidden_block_count_z
      - .offset:         60
        .size:           2
        .value_kind:     hidden_group_size_x
      - .offset:         62
        .size:           2
        .value_kind:     hidden_group_size_y
      - .offset:         64
        .size:           2
        .value_kind:     hidden_group_size_z
      - .offset:         66
        .size:           2
        .value_kind:     hidden_remainder_x
      - .offset:         68
        .size:           2
        .value_kind:     hidden_remainder_y
      - .offset:         70
        .size:           2
        .value_kind:     hidden_remainder_z
      - .offset:         88
        .size:           8
        .value_kind:     hidden_global_offset_x
      - .offset:         96
        .size:           8
        .value_kind:     hidden_global_offset_y
      - .offset:         104
        .size:           8
        .value_kind:     hidden_global_offset_z
      - .offset:         112
        .size:           2
        .value_kind:     hidden_grid_dims
    .group_segment_fixed_size: 512
    .kernarg_segment_align: 8
    .kernarg_segment_size: 304
    .language:       OpenCL C
    .language_version:
      - 2
      - 0
    .max_flat_workgroup_size: 1024
    .name:           _ZN2at6native12_GLOBAL__N_130MultiMarginLoss_forward_kernelILi1EN3c108BFloat16EEEvPT0_PKS5_PKlS8_iibS5_
    .private_segment_fixed_size: 0
    .sgpr_count:     29
    .sgpr_spill_count: 0
    .symbol:         _ZN2at6native12_GLOBAL__N_130MultiMarginLoss_forward_kernelILi1EN3c108BFloat16EEEvPT0_PKS5_PKlS8_iibS5_.kd
    .uniform_work_group_size: 1
    .uses_dynamic_stack: false
    .vgpr_count:     11
    .vgpr_spill_count: 0
    .wavefront_size: 64
  - .args:
      - .address_space:  global
        .offset:         0
        .size:           8
        .value_kind:     global_buffer
      - .address_space:  global
        .offset:         8
        .size:           8
        .value_kind:     global_buffer
      - .address_space:  global
        .offset:         16
        .size:           8
        .value_kind:     global_buffer
      - .address_space:  global
        .offset:         24
        .size:           8
        .value_kind:     global_buffer
      - .offset:         32
        .size:           4
        .value_kind:     by_value
      - .offset:         36
        .size:           4
        .value_kind:     by_value
      - .offset:         40
        .size:           1
        .value_kind:     by_value
      - .offset:         42
        .size:           2
        .value_kind:     by_value
      - .offset:         48
        .size:           4
        .value_kind:     hidden_block_count_x
      - .offset:         52
        .size:           4
        .value_kind:     hidden_block_count_y
      - .offset:         56
        .size:           4
        .value_kind:     hidden_block_count_z
      - .offset:         60
        .size:           2
        .value_kind:     hidden_group_size_x
      - .offset:         62
        .size:           2
        .value_kind:     hidden_group_size_y
      - .offset:         64
        .size:           2
        .value_kind:     hidden_group_size_z
      - .offset:         66
        .size:           2
        .value_kind:     hidden_remainder_x
      - .offset:         68
        .size:           2
        .value_kind:     hidden_remainder_y
      - .offset:         70
        .size:           2
        .value_kind:     hidden_remainder_z
      - .offset:         88
        .size:           8
        .value_kind:     hidden_global_offset_x
      - .offset:         96
        .size:           8
        .value_kind:     hidden_global_offset_y
      - .offset:         104
        .size:           8
        .value_kind:     hidden_global_offset_z
      - .offset:         112
        .size:           2
        .value_kind:     hidden_grid_dims
    .group_segment_fixed_size: 512
    .kernarg_segment_align: 8
    .kernarg_segment_size: 304
    .language:       OpenCL C
    .language_version:
      - 2
      - 0
    .max_flat_workgroup_size: 1024
    .name:           _ZN2at6native12_GLOBAL__N_130MultiMarginLoss_forward_kernelILi2EN3c108BFloat16EEEvPT0_PKS5_PKlS8_iibS5_
    .private_segment_fixed_size: 0
    .sgpr_count:     29
    .sgpr_spill_count: 0
    .symbol:         _ZN2at6native12_GLOBAL__N_130MultiMarginLoss_forward_kernelILi2EN3c108BFloat16EEEvPT0_PKS5_PKlS8_iibS5_.kd
    .uniform_work_group_size: 1
    .uses_dynamic_stack: false
    .vgpr_count:     11
    .vgpr_spill_count: 0
    .wavefront_size: 64
  - .args:
      - .address_space:  global
        .offset:         0
        .size:           8
        .value_kind:     global_buffer
      - .address_space:  global
        .offset:         8
        .size:           8
        .value_kind:     global_buffer
      - .address_space:  global
        .offset:         16
        .size:           8
        .value_kind:     global_buffer
      - .address_space:  global
        .offset:         24
        .size:           8
        .value_kind:     global_buffer
      - .address_space:  global
        .offset:         32
        .size:           8
        .value_kind:     global_buffer
      - .offset:         40
        .size:           4
        .value_kind:     by_value
      - .offset:         44
        .size:           4
        .value_kind:     by_value
      - .offset:         48
        .size:           1
        .value_kind:     by_value
      - .offset:         56
        .size:           8
        .value_kind:     by_value
      - .offset:         64
        .size:           1
        .value_kind:     by_value
      - .offset:         72
        .size:           4
        .value_kind:     hidden_block_count_x
      - .offset:         76
        .size:           4
        .value_kind:     hidden_block_count_y
      - .offset:         80
        .size:           4
        .value_kind:     hidden_block_count_z
      - .offset:         84
        .size:           2
        .value_kind:     hidden_group_size_x
      - .offset:         86
        .size:           2
        .value_kind:     hidden_group_size_y
      - .offset:         88
        .size:           2
        .value_kind:     hidden_group_size_z
      - .offset:         90
        .size:           2
        .value_kind:     hidden_remainder_x
      - .offset:         92
        .size:           2
        .value_kind:     hidden_remainder_y
      - .offset:         94
        .size:           2
        .value_kind:     hidden_remainder_z
      - .offset:         112
        .size:           8
        .value_kind:     hidden_global_offset_x
      - .offset:         120
        .size:           8
        .value_kind:     hidden_global_offset_y
      - .offset:         128
        .size:           8
        .value_kind:     hidden_global_offset_z
      - .offset:         136
        .size:           2
        .value_kind:     hidden_grid_dims
    .group_segment_fixed_size: 1024
    .kernarg_segment_align: 8
    .kernarg_segment_size: 328
    .language:       OpenCL C
    .language_version:
      - 2
      - 0
    .max_flat_workgroup_size: 1024
    .name:           _ZN2at6native12_GLOBAL__N_131MultiMarginLoss_backward_kernelILi1EdEEvPT0_PKS3_S6_PKlS6_iibS3_b
    .private_segment_fixed_size: 0
    .sgpr_count:     44
    .sgpr_spill_count: 0
    .symbol:         _ZN2at6native12_GLOBAL__N_131MultiMarginLoss_backward_kernelILi1EdEEvPT0_PKS3_S6_PKlS6_iibS3_b.kd
    .uniform_work_group_size: 1
    .uses_dynamic_stack: false
    .vgpr_count:     16
    .vgpr_spill_count: 0
    .wavefront_size: 64
  - .args:
      - .address_space:  global
        .offset:         0
        .size:           8
        .value_kind:     global_buffer
      - .address_space:  global
        .offset:         8
        .size:           8
        .value_kind:     global_buffer
      - .address_space:  global
        .offset:         16
        .size:           8
        .value_kind:     global_buffer
      - .address_space:  global
        .offset:         24
        .size:           8
        .value_kind:     global_buffer
      - .address_space:  global
        .offset:         32
        .size:           8
        .value_kind:     global_buffer
      - .offset:         40
        .size:           4
        .value_kind:     by_value
      - .offset:         44
        .size:           4
        .value_kind:     by_value
      - .offset:         48
        .size:           1
        .value_kind:     by_value
      - .offset:         56
        .size:           8
        .value_kind:     by_value
      - .offset:         64
        .size:           1
        .value_kind:     by_value
      - .offset:         72
        .size:           4
        .value_kind:     hidden_block_count_x
      - .offset:         76
        .size:           4
        .value_kind:     hidden_block_count_y
      - .offset:         80
        .size:           4
        .value_kind:     hidden_block_count_z
      - .offset:         84
        .size:           2
        .value_kind:     hidden_group_size_x
      - .offset:         86
        .size:           2
        .value_kind:     hidden_group_size_y
      - .offset:         88
        .size:           2
        .value_kind:     hidden_group_size_z
      - .offset:         90
        .size:           2
        .value_kind:     hidden_remainder_x
      - .offset:         92
        .size:           2
        .value_kind:     hidden_remainder_y
      - .offset:         94
        .size:           2
        .value_kind:     hidden_remainder_z
      - .offset:         112
        .size:           8
        .value_kind:     hidden_global_offset_x
      - .offset:         120
        .size:           8
        .value_kind:     hidden_global_offset_y
      - .offset:         128
        .size:           8
        .value_kind:     hidden_global_offset_z
      - .offset:         136
        .size:           2
        .value_kind:     hidden_grid_dims
    .group_segment_fixed_size: 1024
    .kernarg_segment_align: 8
    .kernarg_segment_size: 328
    .language:       OpenCL C
    .language_version:
      - 2
      - 0
    .max_flat_workgroup_size: 1024
    .name:           _ZN2at6native12_GLOBAL__N_131MultiMarginLoss_backward_kernelILi2EdEEvPT0_PKS3_S6_PKlS6_iibS3_b
    .private_segment_fixed_size: 0
    .sgpr_count:     42
    .sgpr_spill_count: 0
    .symbol:         _ZN2at6native12_GLOBAL__N_131MultiMarginLoss_backward_kernelILi2EdEEvPT0_PKS3_S6_PKlS6_iibS3_b.kd
    .uniform_work_group_size: 1
    .uses_dynamic_stack: false
    .vgpr_count:     16
    .vgpr_spill_count: 0
    .wavefront_size: 64
  - .args:
      - .address_space:  global
        .offset:         0
        .size:           8
        .value_kind:     global_buffer
      - .address_space:  global
        .offset:         8
        .size:           8
        .value_kind:     global_buffer
      - .address_space:  global
        .offset:         16
        .size:           8
        .value_kind:     global_buffer
      - .address_space:  global
        .offset:         24
        .size:           8
        .value_kind:     global_buffer
      - .address_space:  global
        .offset:         32
        .size:           8
        .value_kind:     global_buffer
      - .offset:         40
        .size:           4
        .value_kind:     by_value
      - .offset:         44
        .size:           4
        .value_kind:     by_value
      - .offset:         48
        .size:           1
        .value_kind:     by_value
      - .offset:         52
        .size:           4
        .value_kind:     by_value
      - .offset:         56
        .size:           1
        .value_kind:     by_value
      - .offset:         64
        .size:           4
        .value_kind:     hidden_block_count_x
      - .offset:         68
        .size:           4
        .value_kind:     hidden_block_count_y
      - .offset:         72
        .size:           4
        .value_kind:     hidden_block_count_z
      - .offset:         76
        .size:           2
        .value_kind:     hidden_group_size_x
      - .offset:         78
        .size:           2
        .value_kind:     hidden_group_size_y
      - .offset:         80
        .size:           2
        .value_kind:     hidden_group_size_z
      - .offset:         82
        .size:           2
        .value_kind:     hidden_remainder_x
      - .offset:         84
        .size:           2
        .value_kind:     hidden_remainder_y
      - .offset:         86
        .size:           2
        .value_kind:     hidden_remainder_z
      - .offset:         104
        .size:           8
        .value_kind:     hidden_global_offset_x
      - .offset:         112
        .size:           8
        .value_kind:     hidden_global_offset_y
      - .offset:         120
        .size:           8
        .value_kind:     hidden_global_offset_z
      - .offset:         128
        .size:           2
        .value_kind:     hidden_grid_dims
    .group_segment_fixed_size: 512
    .kernarg_segment_align: 8
    .kernarg_segment_size: 320
    .language:       OpenCL C
    .language_version:
      - 2
      - 0
    .max_flat_workgroup_size: 1024
    .name:           _ZN2at6native12_GLOBAL__N_131MultiMarginLoss_backward_kernelILi1EfEEvPT0_PKS3_S6_PKlS6_iibS3_b
    .private_segment_fixed_size: 0
    .sgpr_count:     40
    .sgpr_spill_count: 0
    .symbol:         _ZN2at6native12_GLOBAL__N_131MultiMarginLoss_backward_kernelILi1EfEEvPT0_PKS3_S6_PKlS6_iibS3_b.kd
    .uniform_work_group_size: 1
    .uses_dynamic_stack: false
    .vgpr_count:     12
    .vgpr_spill_count: 0
    .wavefront_size: 64
  - .args:
      - .address_space:  global
        .offset:         0
        .size:           8
        .value_kind:     global_buffer
      - .address_space:  global
        .offset:         8
        .size:           8
        .value_kind:     global_buffer
      - .address_space:  global
        .offset:         16
        .size:           8
        .value_kind:     global_buffer
      - .address_space:  global
        .offset:         24
        .size:           8
        .value_kind:     global_buffer
      - .address_space:  global
        .offset:         32
        .size:           8
        .value_kind:     global_buffer
      - .offset:         40
        .size:           4
        .value_kind:     by_value
      - .offset:         44
        .size:           4
        .value_kind:     by_value
      - .offset:         48
        .size:           1
        .value_kind:     by_value
      - .offset:         52
        .size:           4
        .value_kind:     by_value
      - .offset:         56
        .size:           1
        .value_kind:     by_value
      - .offset:         64
        .size:           4
        .value_kind:     hidden_block_count_x
      - .offset:         68
        .size:           4
        .value_kind:     hidden_block_count_y
      - .offset:         72
        .size:           4
        .value_kind:     hidden_block_count_z
      - .offset:         76
        .size:           2
        .value_kind:     hidden_group_size_x
      - .offset:         78
        .size:           2
        .value_kind:     hidden_group_size_y
      - .offset:         80
        .size:           2
        .value_kind:     hidden_group_size_z
      - .offset:         82
        .size:           2
        .value_kind:     hidden_remainder_x
      - .offset:         84
        .size:           2
        .value_kind:     hidden_remainder_y
      - .offset:         86
        .size:           2
        .value_kind:     hidden_remainder_z
      - .offset:         104
        .size:           8
        .value_kind:     hidden_global_offset_x
      - .offset:         112
        .size:           8
        .value_kind:     hidden_global_offset_y
      - .offset:         120
        .size:           8
        .value_kind:     hidden_global_offset_z
      - .offset:         128
        .size:           2
        .value_kind:     hidden_grid_dims
    .group_segment_fixed_size: 512
    .kernarg_segment_align: 8
    .kernarg_segment_size: 320
    .language:       OpenCL C
    .language_version:
      - 2
      - 0
    .max_flat_workgroup_size: 1024
    .name:           _ZN2at6native12_GLOBAL__N_131MultiMarginLoss_backward_kernelILi2EfEEvPT0_PKS3_S6_PKlS6_iibS3_b
    .private_segment_fixed_size: 0
    .sgpr_count:     40
    .sgpr_spill_count: 0
    .symbol:         _ZN2at6native12_GLOBAL__N_131MultiMarginLoss_backward_kernelILi2EfEEvPT0_PKS3_S6_PKlS6_iibS3_b.kd
    .uniform_work_group_size: 1
    .uses_dynamic_stack: false
    .vgpr_count:     12
    .vgpr_spill_count: 0
    .wavefront_size: 64
  - .args:
      - .address_space:  global
        .offset:         0
        .size:           8
        .value_kind:     global_buffer
      - .address_space:  global
        .offset:         8
        .size:           8
        .value_kind:     global_buffer
      - .address_space:  global
        .offset:         16
        .size:           8
        .value_kind:     global_buffer
      - .address_space:  global
        .offset:         24
        .size:           8
        .value_kind:     global_buffer
      - .address_space:  global
        .offset:         32
        .size:           8
        .value_kind:     global_buffer
      - .offset:         40
        .size:           4
        .value_kind:     by_value
      - .offset:         44
        .size:           4
        .value_kind:     by_value
      - .offset:         48
        .size:           1
        .value_kind:     by_value
      - .offset:         50
        .size:           2
        .value_kind:     by_value
      - .offset:         52
        .size:           1
        .value_kind:     by_value
      - .offset:         56
        .size:           4
        .value_kind:     hidden_block_count_x
      - .offset:         60
        .size:           4
        .value_kind:     hidden_block_count_y
      - .offset:         64
        .size:           4
        .value_kind:     hidden_block_count_z
      - .offset:         68
        .size:           2
        .value_kind:     hidden_group_size_x
      - .offset:         70
        .size:           2
        .value_kind:     hidden_group_size_y
      - .offset:         72
        .size:           2
        .value_kind:     hidden_group_size_z
      - .offset:         74
        .size:           2
        .value_kind:     hidden_remainder_x
      - .offset:         76
        .size:           2
        .value_kind:     hidden_remainder_y
      - .offset:         78
        .size:           2
        .value_kind:     hidden_remainder_z
      - .offset:         96
        .size:           8
        .value_kind:     hidden_global_offset_x
      - .offset:         104
        .size:           8
        .value_kind:     hidden_global_offset_y
      - .offset:         112
        .size:           8
        .value_kind:     hidden_global_offset_z
      - .offset:         120
        .size:           2
        .value_kind:     hidden_grid_dims
    .group_segment_fixed_size: 512
    .kernarg_segment_align: 8
    .kernarg_segment_size: 312
    .language:       OpenCL C
    .language_version:
      - 2
      - 0
    .max_flat_workgroup_size: 1024
    .name:           _ZN2at6native12_GLOBAL__N_131MultiMarginLoss_backward_kernelILi1EN3c104HalfEEEvPT0_PKS5_S8_PKlS8_iibS5_b
    .private_segment_fixed_size: 0
    .sgpr_count:     38
    .sgpr_spill_count: 0
    .symbol:         _ZN2at6native12_GLOBAL__N_131MultiMarginLoss_backward_kernelILi1EN3c104HalfEEEvPT0_PKS5_S8_PKlS8_iibS5_b.kd
    .uniform_work_group_size: 1
    .uses_dynamic_stack: false
    .vgpr_count:     14
    .vgpr_spill_count: 0
    .wavefront_size: 64
  - .args:
      - .address_space:  global
        .offset:         0
        .size:           8
        .value_kind:     global_buffer
      - .address_space:  global
        .offset:         8
        .size:           8
        .value_kind:     global_buffer
      - .address_space:  global
        .offset:         16
        .size:           8
        .value_kind:     global_buffer
      - .address_space:  global
        .offset:         24
        .size:           8
        .value_kind:     global_buffer
      - .address_space:  global
        .offset:         32
        .size:           8
        .value_kind:     global_buffer
      - .offset:         40
        .size:           4
        .value_kind:     by_value
      - .offset:         44
        .size:           4
        .value_kind:     by_value
      - .offset:         48
        .size:           1
        .value_kind:     by_value
      - .offset:         50
        .size:           2
        .value_kind:     by_value
      - .offset:         52
        .size:           1
        .value_kind:     by_value
      - .offset:         56
        .size:           4
        .value_kind:     hidden_block_count_x
      - .offset:         60
        .size:           4
        .value_kind:     hidden_block_count_y
      - .offset:         64
        .size:           4
        .value_kind:     hidden_block_count_z
      - .offset:         68
        .size:           2
        .value_kind:     hidden_group_size_x
      - .offset:         70
        .size:           2
        .value_kind:     hidden_group_size_y
      - .offset:         72
        .size:           2
        .value_kind:     hidden_group_size_z
      - .offset:         74
        .size:           2
        .value_kind:     hidden_remainder_x
      - .offset:         76
        .size:           2
        .value_kind:     hidden_remainder_y
      - .offset:         78
        .size:           2
        .value_kind:     hidden_remainder_z
      - .offset:         96
        .size:           8
        .value_kind:     hidden_global_offset_x
      - .offset:         104
        .size:           8
        .value_kind:     hidden_global_offset_y
      - .offset:         112
        .size:           8
        .value_kind:     hidden_global_offset_z
      - .offset:         120
        .size:           2
        .value_kind:     hidden_grid_dims
    .group_segment_fixed_size: 512
    .kernarg_segment_align: 8
    .kernarg_segment_size: 312
    .language:       OpenCL C
    .language_version:
      - 2
      - 0
    .max_flat_workgroup_size: 1024
    .name:           _ZN2at6native12_GLOBAL__N_131MultiMarginLoss_backward_kernelILi2EN3c104HalfEEEvPT0_PKS5_S8_PKlS8_iibS5_b
    .private_segment_fixed_size: 0
    .sgpr_count:     38
    .sgpr_spill_count: 0
    .symbol:         _ZN2at6native12_GLOBAL__N_131MultiMarginLoss_backward_kernelILi2EN3c104HalfEEEvPT0_PKS5_S8_PKlS8_iibS5_b.kd
    .uniform_work_group_size: 1
    .uses_dynamic_stack: false
    .vgpr_count:     14
    .vgpr_spill_count: 0
    .wavefront_size: 64
  - .args:
      - .address_space:  global
        .offset:         0
        .size:           8
        .value_kind:     global_buffer
      - .address_space:  global
        .offset:         8
        .size:           8
        .value_kind:     global_buffer
      - .address_space:  global
        .offset:         16
        .size:           8
        .value_kind:     global_buffer
      - .address_space:  global
        .offset:         24
        .size:           8
        .value_kind:     global_buffer
      - .address_space:  global
        .offset:         32
        .size:           8
        .value_kind:     global_buffer
      - .offset:         40
        .size:           4
        .value_kind:     by_value
      - .offset:         44
        .size:           4
        .value_kind:     by_value
      - .offset:         48
        .size:           1
        .value_kind:     by_value
      - .offset:         50
        .size:           2
        .value_kind:     by_value
      - .offset:         52
        .size:           1
        .value_kind:     by_value
      - .offset:         56
        .size:           4
        .value_kind:     hidden_block_count_x
      - .offset:         60
        .size:           4
        .value_kind:     hidden_block_count_y
      - .offset:         64
        .size:           4
        .value_kind:     hidden_block_count_z
      - .offset:         68
        .size:           2
        .value_kind:     hidden_group_size_x
      - .offset:         70
        .size:           2
        .value_kind:     hidden_group_size_y
      - .offset:         72
        .size:           2
        .value_kind:     hidden_group_size_z
      - .offset:         74
        .size:           2
        .value_kind:     hidden_remainder_x
      - .offset:         76
        .size:           2
        .value_kind:     hidden_remainder_y
      - .offset:         78
        .size:           2
        .value_kind:     hidden_remainder_z
      - .offset:         96
        .size:           8
        .value_kind:     hidden_global_offset_x
      - .offset:         104
        .size:           8
        .value_kind:     hidden_global_offset_y
      - .offset:         112
        .size:           8
        .value_kind:     hidden_global_offset_z
      - .offset:         120
        .size:           2
        .value_kind:     hidden_grid_dims
    .group_segment_fixed_size: 512
    .kernarg_segment_align: 8
    .kernarg_segment_size: 312
    .language:       OpenCL C
    .language_version:
      - 2
      - 0
    .max_flat_workgroup_size: 1024
    .name:           _ZN2at6native12_GLOBAL__N_131MultiMarginLoss_backward_kernelILi1EN3c108BFloat16EEEvPT0_PKS5_S8_PKlS8_iibS5_b
    .private_segment_fixed_size: 0
    .sgpr_count:     43
    .sgpr_spill_count: 0
    .symbol:         _ZN2at6native12_GLOBAL__N_131MultiMarginLoss_backward_kernelILi1EN3c108BFloat16EEEvPT0_PKS5_S8_PKlS8_iibS5_b.kd
    .uniform_work_group_size: 1
    .uses_dynamic_stack: false
    .vgpr_count:     12
    .vgpr_spill_count: 0
    .wavefront_size: 64
  - .args:
      - .address_space:  global
        .offset:         0
        .size:           8
        .value_kind:     global_buffer
      - .address_space:  global
        .offset:         8
        .size:           8
        .value_kind:     global_buffer
      - .address_space:  global
        .offset:         16
        .size:           8
        .value_kind:     global_buffer
      - .address_space:  global
        .offset:         24
        .size:           8
        .value_kind:     global_buffer
      - .address_space:  global
        .offset:         32
        .size:           8
        .value_kind:     global_buffer
      - .offset:         40
        .size:           4
        .value_kind:     by_value
      - .offset:         44
        .size:           4
        .value_kind:     by_value
      - .offset:         48
        .size:           1
        .value_kind:     by_value
      - .offset:         50
        .size:           2
        .value_kind:     by_value
      - .offset:         52
        .size:           1
        .value_kind:     by_value
      - .offset:         56
        .size:           4
        .value_kind:     hidden_block_count_x
      - .offset:         60
        .size:           4
        .value_kind:     hidden_block_count_y
      - .offset:         64
        .size:           4
        .value_kind:     hidden_block_count_z
      - .offset:         68
        .size:           2
        .value_kind:     hidden_group_size_x
      - .offset:         70
        .size:           2
        .value_kind:     hidden_group_size_y
      - .offset:         72
        .size:           2
        .value_kind:     hidden_group_size_z
      - .offset:         74
        .size:           2
        .value_kind:     hidden_remainder_x
      - .offset:         76
        .size:           2
        .value_kind:     hidden_remainder_y
      - .offset:         78
        .size:           2
        .value_kind:     hidden_remainder_z
      - .offset:         96
        .size:           8
        .value_kind:     hidden_global_offset_x
      - .offset:         104
        .size:           8
        .value_kind:     hidden_global_offset_y
      - .offset:         112
        .size:           8
        .value_kind:     hidden_global_offset_z
      - .offset:         120
        .size:           2
        .value_kind:     hidden_grid_dims
    .group_segment_fixed_size: 512
    .kernarg_segment_align: 8
    .kernarg_segment_size: 312
    .language:       OpenCL C
    .language_version:
      - 2
      - 0
    .max_flat_workgroup_size: 1024
    .name:           _ZN2at6native12_GLOBAL__N_131MultiMarginLoss_backward_kernelILi2EN3c108BFloat16EEEvPT0_PKS5_S8_PKlS8_iibS5_b
    .private_segment_fixed_size: 0
    .sgpr_count:     40
    .sgpr_spill_count: 0
    .symbol:         _ZN2at6native12_GLOBAL__N_131MultiMarginLoss_backward_kernelILi2EN3c108BFloat16EEEvPT0_PKS5_S8_PKlS8_iibS5_b.kd
    .uniform_work_group_size: 1
    .uses_dynamic_stack: false
    .vgpr_count:     15
    .vgpr_spill_count: 0
    .wavefront_size: 64
amdhsa.target:   amdgcn-amd-amdhsa--gfx906
amdhsa.version:
  - 1
  - 2
...

	.end_amdgpu_metadata
